;; amdgpu-corpus repo=ROCm/rocFFT kind=compiled arch=gfx950 opt=O3
	.text
	.amdgcn_target "amdgcn-amd-amdhsa--gfx950"
	.amdhsa_code_object_version 6
	.protected	fft_rtc_fwd_len3200_factors_10_10_4_4_2_wgs_160_tpt_160_halfLds_sp_ip_CI_unitstride_sbrr_dirReg ; -- Begin function fft_rtc_fwd_len3200_factors_10_10_4_4_2_wgs_160_tpt_160_halfLds_sp_ip_CI_unitstride_sbrr_dirReg
	.globl	fft_rtc_fwd_len3200_factors_10_10_4_4_2_wgs_160_tpt_160_halfLds_sp_ip_CI_unitstride_sbrr_dirReg
	.p2align	8
	.type	fft_rtc_fwd_len3200_factors_10_10_4_4_2_wgs_160_tpt_160_halfLds_sp_ip_CI_unitstride_sbrr_dirReg,@function
fft_rtc_fwd_len3200_factors_10_10_4_4_2_wgs_160_tpt_160_halfLds_sp_ip_CI_unitstride_sbrr_dirReg: ; @fft_rtc_fwd_len3200_factors_10_10_4_4_2_wgs_160_tpt_160_halfLds_sp_ip_CI_unitstride_sbrr_dirReg
; %bb.0:
	s_load_dwordx2 s[8:9], s[0:1], 0x50
	s_load_dwordx4 s[4:7], s[0:1], 0x0
	s_load_dwordx2 s[10:11], s[0:1], 0x18
	v_mul_u32_u24_e32 v1, 0x19a, v0
	v_add_u32_sdwa v6, s2, v1 dst_sel:DWORD dst_unused:UNUSED_PAD src0_sel:DWORD src1_sel:WORD_1
	v_mov_b32_e32 v4, 0
	s_waitcnt lgkmcnt(0)
	v_cmp_lt_u64_e64 s[2:3], s[6:7], 2
	v_mov_b32_e32 v7, v4
	s_and_b64 vcc, exec, s[2:3]
	v_mov_b64_e32 v[2:3], 0
	s_cbranch_vccnz .LBB0_8
; %bb.1:
	s_load_dwordx2 s[2:3], s[0:1], 0x10
	s_add_u32 s12, s10, 8
	s_addc_u32 s13, s11, 0
	s_mov_b64 s[14:15], 1
	v_mov_b64_e32 v[2:3], 0
	s_waitcnt lgkmcnt(0)
	s_add_u32 s16, s2, 8
	s_addc_u32 s17, s3, 0
.LBB0_2:                                ; =>This Inner Loop Header: Depth=1
	s_load_dwordx2 s[18:19], s[16:17], 0x0
                                        ; implicit-def: $vgpr8_vgpr9
	s_waitcnt lgkmcnt(0)
	v_or_b32_e32 v5, s19, v7
	v_cmp_ne_u64_e32 vcc, 0, v[4:5]
	s_and_saveexec_b64 s[2:3], vcc
	s_xor_b64 s[20:21], exec, s[2:3]
	s_cbranch_execz .LBB0_4
; %bb.3:                                ;   in Loop: Header=BB0_2 Depth=1
	v_cvt_f32_u32_e32 v1, s18
	v_cvt_f32_u32_e32 v5, s19
	s_sub_u32 s2, 0, s18
	s_subb_u32 s3, 0, s19
	v_fmac_f32_e32 v1, 0x4f800000, v5
	v_rcp_f32_e32 v1, v1
	s_nop 0
	v_mul_f32_e32 v1, 0x5f7ffffc, v1
	v_mul_f32_e32 v5, 0x2f800000, v1
	v_trunc_f32_e32 v5, v5
	v_fmac_f32_e32 v1, 0xcf800000, v5
	v_cvt_u32_f32_e32 v5, v5
	v_cvt_u32_f32_e32 v1, v1
	v_mul_lo_u32 v8, s2, v5
	v_mul_hi_u32 v10, s2, v1
	v_mul_lo_u32 v9, s3, v1
	v_add_u32_e32 v10, v10, v8
	v_mul_lo_u32 v12, s2, v1
	v_add_u32_e32 v13, v10, v9
	v_mul_hi_u32 v8, v1, v12
	v_mul_hi_u32 v11, v1, v13
	v_mul_lo_u32 v10, v1, v13
	v_mov_b32_e32 v9, v4
	v_lshl_add_u64 v[8:9], v[8:9], 0, v[10:11]
	v_mul_hi_u32 v11, v5, v12
	v_mul_lo_u32 v12, v5, v12
	v_add_co_u32_e32 v8, vcc, v8, v12
	v_mul_hi_u32 v10, v5, v13
	s_nop 0
	v_addc_co_u32_e32 v8, vcc, v9, v11, vcc
	v_mov_b32_e32 v9, v4
	s_nop 0
	v_addc_co_u32_e32 v11, vcc, 0, v10, vcc
	v_mul_lo_u32 v10, v5, v13
	v_lshl_add_u64 v[8:9], v[8:9], 0, v[10:11]
	v_add_co_u32_e32 v1, vcc, v1, v8
	v_mul_lo_u32 v10, s2, v1
	s_nop 0
	v_addc_co_u32_e32 v5, vcc, v5, v9, vcc
	v_mul_lo_u32 v8, s2, v5
	v_mul_hi_u32 v9, s2, v1
	v_add_u32_e32 v8, v9, v8
	v_mul_lo_u32 v9, s3, v1
	v_add_u32_e32 v12, v8, v9
	v_mul_hi_u32 v14, v5, v10
	v_mul_lo_u32 v15, v5, v10
	v_mul_hi_u32 v9, v1, v12
	v_mul_lo_u32 v8, v1, v12
	v_mul_hi_u32 v10, v1, v10
	v_mov_b32_e32 v11, v4
	v_lshl_add_u64 v[8:9], v[10:11], 0, v[8:9]
	v_add_co_u32_e32 v8, vcc, v8, v15
	v_mul_hi_u32 v13, v5, v12
	s_nop 0
	v_addc_co_u32_e32 v8, vcc, v9, v14, vcc
	v_mul_lo_u32 v10, v5, v12
	s_nop 0
	v_addc_co_u32_e32 v11, vcc, 0, v13, vcc
	v_mov_b32_e32 v9, v4
	v_lshl_add_u64 v[8:9], v[8:9], 0, v[10:11]
	v_add_co_u32_e32 v1, vcc, v1, v8
	v_mul_hi_u32 v10, v6, v1
	s_nop 0
	v_addc_co_u32_e32 v5, vcc, v5, v9, vcc
	v_mad_u64_u32 v[8:9], s[2:3], v6, v5, 0
	v_mov_b32_e32 v11, v4
	v_lshl_add_u64 v[8:9], v[10:11], 0, v[8:9]
	v_mad_u64_u32 v[12:13], s[2:3], v7, v1, 0
	v_add_co_u32_e32 v1, vcc, v8, v12
	v_mad_u64_u32 v[10:11], s[2:3], v7, v5, 0
	s_nop 0
	v_addc_co_u32_e32 v8, vcc, v9, v13, vcc
	v_mov_b32_e32 v9, v4
	s_nop 0
	v_addc_co_u32_e32 v11, vcc, 0, v11, vcc
	v_lshl_add_u64 v[8:9], v[8:9], 0, v[10:11]
	v_mul_lo_u32 v1, s19, v8
	v_mul_lo_u32 v5, s18, v9
	v_mad_u64_u32 v[10:11], s[2:3], s18, v8, 0
	v_add3_u32 v1, v11, v5, v1
	v_sub_u32_e32 v5, v7, v1
	v_mov_b32_e32 v11, s19
	v_sub_co_u32_e32 v14, vcc, v6, v10
	v_lshl_add_u64 v[12:13], v[8:9], 0, 1
	s_nop 0
	v_subb_co_u32_e64 v5, s[2:3], v5, v11, vcc
	v_subrev_co_u32_e64 v10, s[2:3], s18, v14
	v_subb_co_u32_e32 v1, vcc, v7, v1, vcc
	s_nop 0
	v_subbrev_co_u32_e64 v5, s[2:3], 0, v5, s[2:3]
	v_cmp_le_u32_e64 s[2:3], s19, v5
	v_cmp_le_u32_e32 vcc, s19, v1
	s_nop 0
	v_cndmask_b32_e64 v11, 0, -1, s[2:3]
	v_cmp_le_u32_e64 s[2:3], s18, v10
	s_nop 1
	v_cndmask_b32_e64 v10, 0, -1, s[2:3]
	v_cmp_eq_u32_e64 s[2:3], s19, v5
	s_nop 1
	v_cndmask_b32_e64 v5, v11, v10, s[2:3]
	v_lshl_add_u64 v[10:11], v[8:9], 0, 2
	v_cmp_ne_u32_e64 s[2:3], 0, v5
	s_nop 1
	v_cndmask_b32_e64 v5, v13, v11, s[2:3]
	v_cndmask_b32_e64 v11, 0, -1, vcc
	v_cmp_le_u32_e32 vcc, s18, v14
	s_nop 1
	v_cndmask_b32_e64 v13, 0, -1, vcc
	v_cmp_eq_u32_e32 vcc, s19, v1
	s_nop 1
	v_cndmask_b32_e32 v1, v11, v13, vcc
	v_cmp_ne_u32_e32 vcc, 0, v1
	v_cndmask_b32_e64 v1, v12, v10, s[2:3]
	s_nop 0
	v_cndmask_b32_e32 v9, v9, v5, vcc
	v_cndmask_b32_e32 v8, v8, v1, vcc
.LBB0_4:                                ;   in Loop: Header=BB0_2 Depth=1
	s_andn2_saveexec_b64 s[2:3], s[20:21]
	s_cbranch_execz .LBB0_6
; %bb.5:                                ;   in Loop: Header=BB0_2 Depth=1
	v_cvt_f32_u32_e32 v1, s18
	s_sub_i32 s20, 0, s18
	v_rcp_iflag_f32_e32 v1, v1
	s_nop 0
	v_mul_f32_e32 v1, 0x4f7ffffe, v1
	v_cvt_u32_f32_e32 v1, v1
	v_mul_lo_u32 v5, s20, v1
	v_mul_hi_u32 v5, v1, v5
	v_add_u32_e32 v1, v1, v5
	v_mul_hi_u32 v1, v6, v1
	v_mul_lo_u32 v5, v1, s18
	v_sub_u32_e32 v5, v6, v5
	v_add_u32_e32 v8, 1, v1
	v_subrev_u32_e32 v9, s18, v5
	v_cmp_le_u32_e32 vcc, s18, v5
	s_nop 1
	v_cndmask_b32_e32 v5, v5, v9, vcc
	v_cndmask_b32_e32 v1, v1, v8, vcc
	v_add_u32_e32 v8, 1, v1
	v_cmp_le_u32_e32 vcc, s18, v5
	v_mov_b32_e32 v9, v4
	s_nop 0
	v_cndmask_b32_e32 v8, v1, v8, vcc
.LBB0_6:                                ;   in Loop: Header=BB0_2 Depth=1
	s_or_b64 exec, exec, s[2:3]
	v_mad_u64_u32 v[10:11], s[2:3], v8, s18, 0
	s_load_dwordx2 s[2:3], s[12:13], 0x0
	v_mul_lo_u32 v1, v9, s18
	v_mul_lo_u32 v5, v8, s19
	v_add3_u32 v1, v11, v5, v1
	v_sub_co_u32_e32 v5, vcc, v6, v10
	s_add_u32 s14, s14, 1
	s_nop 0
	v_subb_co_u32_e32 v1, vcc, v7, v1, vcc
	s_addc_u32 s15, s15, 0
	s_waitcnt lgkmcnt(0)
	v_mul_lo_u32 v1, s2, v1
	v_mul_lo_u32 v6, s3, v5
	v_mad_u64_u32 v[2:3], s[2:3], s2, v5, v[2:3]
	s_add_u32 s12, s12, 8
	v_add3_u32 v3, v6, v3, v1
	s_addc_u32 s13, s13, 0
	v_mov_b64_e32 v[6:7], s[6:7]
	s_add_u32 s16, s16, 8
	v_cmp_ge_u64_e32 vcc, s[14:15], v[6:7]
	s_addc_u32 s17, s17, 0
	s_cbranch_vccnz .LBB0_9
; %bb.7:                                ;   in Loop: Header=BB0_2 Depth=1
	v_mov_b64_e32 v[6:7], v[8:9]
	s_branch .LBB0_2
.LBB0_8:
	v_mov_b64_e32 v[8:9], v[6:7]
.LBB0_9:
	s_lshl_b64 s[2:3], s[6:7], 3
	s_add_u32 s2, s10, s2
	s_addc_u32 s3, s11, s3
	s_load_dwordx2 s[6:7], s[2:3], 0x0
	s_load_dwordx2 s[10:11], s[0:1], 0x20
	s_mov_b32 s2, 0x199999a
                                        ; implicit-def: $vgpr12
	s_waitcnt lgkmcnt(0)
	v_mul_lo_u32 v1, s6, v9
	v_mul_lo_u32 v4, s7, v8
	v_mad_u64_u32 v[2:3], s[0:1], s6, v8, v[2:3]
	v_add3_u32 v3, v4, v3, v1
	v_mul_hi_u32 v1, v0, s2
	v_mul_u32_u24_e32 v1, 0xa0, v1
	v_cmp_gt_u64_e64 s[0:1], s[10:11], v[8:9]
	v_cmp_le_u64_e32 vcc, s[10:11], v[8:9]
	v_sub_u32_e32 v8, v0, v1
	s_and_saveexec_b64 s[2:3], vcc
	s_xor_b64 s[2:3], exec, s[2:3]
; %bb.10:
	v_or_b32_e32 v12, 0x500, v8
; %bb.11:
	s_or_saveexec_b64 s[2:3], s[2:3]
	v_lshl_add_u64 v[10:11], v[2:3], 3, s[8:9]
                                        ; implicit-def: $vgpr40
                                        ; implicit-def: $vgpr36
                                        ; implicit-def: $vgpr26
                                        ; implicit-def: $vgpr20
                                        ; implicit-def: $vgpr6
                                        ; implicit-def: $vgpr48
                                        ; implicit-def: $vgpr14
                                        ; implicit-def: $vgpr38
                                        ; implicit-def: $vgpr50
                                        ; implicit-def: $vgpr44
                                        ; implicit-def: $vgpr4
                                        ; implicit-def: $vgpr30
                                        ; implicit-def: $vgpr0
                                        ; implicit-def: $vgpr32
                                        ; implicit-def: $vgpr34
                                        ; implicit-def: $vgpr28
                                        ; implicit-def: $vgpr24
                                        ; implicit-def: $vgpr16
                                        ; implicit-def: $vgpr42
                                        ; implicit-def: $vgpr18
                                        ; implicit-def: $vgpr22
                                        ; implicit-def: $vgpr2
	s_xor_b64 exec, exec, s[2:3]
	s_cbranch_execz .LBB0_13
; %bb.12:
	v_mov_b32_e32 v9, 0
	v_lshl_add_u64 v[0:1], v[8:9], 3, v[10:11]
	v_add_co_u32_e32 v2, vcc, 0x1000, v0
	v_or_b32_e32 v14, 0xa00, v8
	s_nop 0
	v_addc_co_u32_e32 v3, vcc, 0, v1, vcc
	v_add_co_u32_e32 v6, vcc, 0x3000, v0
	v_mov_b32_e32 v15, v9
	s_nop 0
	v_addc_co_u32_e32 v7, vcc, 0, v1, vcc
	v_add_co_u32_e32 v24, vcc, 0x4000, v0
	v_or_b32_e32 v12, 0x500, v8
	s_nop 0
	v_addc_co_u32_e32 v25, vcc, 0, v1, vcc
	v_add_co_u32_e32 v46, vcc, 0x5000, v0
	v_mov_b32_e32 v13, v9
	v_lshl_add_u64 v[14:15], v[14:15], 3, v[10:11]
	v_addc_co_u32_e32 v47, vcc, 0, v1, vcc
	global_load_dwordx2 v[16:17], v[0:1], off
	global_load_dwordx2 v[40:41], v[2:3], off offset:1024
	v_lshl_add_u64 v[4:5], v[12:13], 3, v[10:11]
	global_load_dwordx2 v[18:19], v[14:15], off
	global_load_dwordx2 v[38:39], v[6:7], off offset:512
	s_nop 0
	global_load_dwordx2 v[14:15], v[46:47], off offset:2560
	global_load_dwordx2 v[28:29], v[0:1], off offset:3840
	;; [unrolled: 1-line block ×4, first 2 shown]
	global_load_dwordx2 v[36:37], v[4:5], off
	global_load_dwordx2 v[50:51], v[2:3], off offset:3584
	global_load_dwordx2 v[26:27], v[2:3], off offset:2304
	v_add_co_u32_e32 v4, vcc, 0x2000, v0
	s_nop 1
	v_addc_co_u32_e32 v5, vcc, 0, v1, vcc
	global_load_dwordx2 v[2:3], v[46:47], off offset:1280
	global_load_dwordx2 v[30:31], v[24:25], off offset:2816
	;; [unrolled: 1-line block ×9, first 2 shown]
	s_waitcnt vmcnt(19)
	v_mov_b32_e32 v6, v17
	s_waitcnt vmcnt(12)
	v_mov_b32_e32 v4, v53
	v_mov_b32_e32 v25, v16
	s_waitcnt vmcnt(11)
	v_mov_b32_e32 v7, v37
	;; [unrolled: 3-line block ×4, first 2 shown]
.LBB0_13:
	s_or_b64 exec, exec, s[2:3]
	v_mov_b32_e32 v41, v18
	v_mov_b32_e32 v37, v42
	v_pk_add_f32 v[46:47], v[40:41], v[36:37] neg_lo:[0,1] neg_hi:[0,1]
	s_mov_b32 s2, 0x3e9e377a
	v_mov_b32_e32 v52, v47
	s_mov_b32 s3, 0x3f167918
	v_pk_add_f32 v[58:59], v[46:47], v[52:53]
	s_mov_b32 s6, 0x3f737871
	s_mov_b32 s7, s3
	v_pk_add_f32 v[52:53], v[50:51], v[14:15] neg_lo:[0,1] neg_hi:[0,1]
	v_pk_add_f32 v[46:47], v[38:39], v[48:49]
	v_pk_mul_f32 v[54:55], v[52:53], s[6:7] op_sel_hi:[1,0]
	v_pk_fma_f32 v[46:47], v[46:47], 0.5, v[44:45] op_sel_hi:[1,0,1] neg_lo:[1,0,0] neg_hi:[1,0,0]
	v_pk_add_f32 v[60:61], v[14:15], v[48:49] neg_lo:[0,1] neg_hi:[0,1]
	v_pk_add_f32 v[56:57], v[46:47], v[54:55] op_sel:[0,1] op_sel_hi:[1,0]
	v_pk_add_f32 v[46:47], v[46:47], v[54:55] op_sel:[0,1] op_sel_hi:[1,0] neg_lo:[0,1] neg_hi:[0,1]
	v_pk_add_f32 v[54:55], v[50:51], v[38:39] neg_lo:[0,1] neg_hi:[0,1]
	s_mov_b32 s8, s3
	v_pk_add_f32 v[66:67], v[60:61], v[54:55]
	v_pk_add_f32 v[54:55], v[38:39], v[48:49] neg_lo:[0,1] neg_hi:[0,1]
	v_pk_add_f32 v[62:63], v[44:45], v[50:51]
	v_pk_mul_f32 v[60:61], v[54:55], s[8:9] op_sel_hi:[1,0]
	v_mov_b32_e32 v64, v39
	v_pk_add_f32 v[46:47], v[46:47], v[60:61] op_sel:[0,1] op_sel_hi:[1,0] neg_lo:[0,1] neg_hi:[0,1]
	v_pk_add_f32 v[68:69], v[56:57], v[60:61] op_sel:[0,1] op_sel_hi:[1,0]
	v_pk_add_f32 v[70:71], v[38:39], v[50:51] neg_lo:[0,1] neg_hi:[0,1]
	v_mov_b32_e32 v68, v46
	v_mov_b32_e32 v46, v63
	v_pk_mul_f32 v[62:63], v[66:67], s[2:3] op_sel_hi:[1,0]
	v_mov_b32_e32 v60, v44
	v_mov_b32_e32 v65, v63
	v_pk_add_f32 v[46:47], v[64:65], v[46:47]
	v_pk_add_f32 v[64:65], v[14:15], v[50:51]
	v_mov_b32_e32 v51, v56
	v_pk_add_f32 v[50:51], v[60:61], v[50:51]
	v_mov_b32_e32 v39, v62
	;; [unrolled: 2-line block ×3, first 2 shown]
	v_mov_b32_e32 v38, v49
	v_pk_add_f32 v[56:57], v[48:49], v[14:15] neg_lo:[0,1] neg_hi:[0,1]
	v_mov_b32_e32 v49, v39
	v_pk_add_f32 v[60:61], v[48:49], v[50:51]
	v_pk_mul_f32 v[48:49], v[48:49], v[50:51]
	v_pk_fma_f32 v[44:45], v[64:65], 0.5, v[44:45] op_sel_hi:[1,0,1] neg_lo:[1,0,0] neg_hi:[1,0,0]
	v_mov_b32_e32 v61, v49
	v_mul_f32_e32 v49, 0x3f167918, v47
	v_mov_b32_e32 v48, v14
	v_pk_mul_f32 v[54:55], v[54:55], s[6:7] op_sel_hi:[1,0]
	v_pk_add_f32 v[78:79], v[48:49], v[60:61]
	v_pk_add_f32 v[48:49], v[56:57], v[70:71]
	v_pk_add_f32 v[56:57], v[54:55], v[44:45] op_sel:[1,0] op_sel_hi:[0,1]
	v_pk_add_f32 v[44:45], v[44:45], v[54:55] op_sel:[0,1] op_sel_hi:[1,0] neg_lo:[0,1] neg_hi:[0,1]
	v_pk_mul_f32 v[52:53], v[52:53], s[8:9] op_sel_hi:[1,0]
	v_add_f32_e32 v9, v36, v42
	v_pk_add_f32 v[54:55], v[56:57], v[52:53] op_sel:[0,1] op_sel_hi:[1,0] neg_lo:[0,1] neg_hi:[0,1]
	v_pk_add_f32 v[44:45], v[52:53], v[44:45] op_sel:[1,0] op_sel_hi:[0,1]
	v_add_f32_e32 v13, v24, v19
	v_pk_fma_f32 v[52:53], v[48:49], s[2:3], v[54:55] op_sel_hi:[1,0,1]
	v_pk_fma_f32 v[54:55], v[48:49], s[2:3], v[44:45] op_sel_hi:[1,0,1]
	v_mul_f32_e32 v9, 0.5, v9
	v_pk_add_f32 v[64:65], v[36:37], v[40:41] neg_lo:[0,1] neg_hi:[0,1]
	v_mov_b32_e32 v41, v6
	v_mul_f32_e32 v45, 0.5, v13
	v_mov_b32_e32 v44, v18
	v_pk_add_f32 v[72:73], v[40:41], v[44:45] neg_lo:[0,1] neg_hi:[0,1]
	v_mov_b32_e32 v41, v9
	v_add_f32_e32 v9, v40, v18
	v_mov_b32_e32 v14, v25
	v_mul_f32_e32 v45, 0.5, v9
	v_mov_b32_e32 v44, v19
	v_pk_add_f32 v[70:71], v[14:15], v[40:41] op_sel_hi:[0,1]
	v_pk_add_f32 v[80:81], v[14:15], v[40:41] op_sel_hi:[0,1] neg_lo:[0,1] neg_hi:[0,1]
	v_pk_add_f32 v[40:41], v[6:7], v[42:43] neg_lo:[0,1] neg_hi:[0,1]
	v_pk_add_f32 v[82:83], v[24:25], v[44:45] neg_lo:[0,1] neg_hi:[0,1]
	v_mov_b32_e32 v59, v41
	v_fmamk_f32 v84, v41, 0xbf737871, v83
	v_mul_f32_e32 v9, 0x3f737871, v41
	v_pk_mul_f32 v[40:41], v[72:73], s[8:9]
	v_mov_b32_e32 v27, v2
	v_mov_b32_e32 v21, v22
	v_add_f32_e32 v13, v16, v3
	v_mov_b32_e32 v61, v40
	v_pk_add_f32 v[90:91], v[26:27], v[20:21] neg_lo:[0,1] neg_hi:[0,1]
	v_pk_add_f32 v[76:77], v[20:21], v[26:27] neg_lo:[0,1] neg_hi:[0,1]
	v_mov_b32_e32 v27, v4
	v_mul_f32_e32 v41, 0.5, v13
	v_mov_b32_e32 v40, v2
	v_sub_f32_e32 v87, v36, v42
	v_pk_add_f32 v[92:93], v[26:27], v[40:41] neg_lo:[0,1] neg_hi:[0,1]
	v_pk_mul_f32 v[44:45], v[82:83], s[8:9]
	v_mul_f32_e32 v75, 0x3f737871, v87
	v_mov_b32_e32 v74, 0x3f167918
	v_fmamk_f32 v60, v87, 0xbf737871, v73
	v_sub_f32_e32 v89, v20, v22
	v_pk_mul_f32 v[40:41], v[92:93], s[8:9]
	v_mov_b32_e32 v85, v44
	v_pk_add_f32 v[62:63], v[72:73], v[74:75]
	v_pk_fma_f32 v[56:57], v[72:73], v[74:75], v[60:61]
	v_mul_f32_e32 v75, 0x3f737871, v89
	v_mov_b32_e32 v45, v40
	v_fmamk_f32 v44, v89, 0xbf737871, v93
	v_pk_add_f32 v[48:49], v[92:93], v[74:75]
	v_pk_fma_f32 v[40:41], v[92:93], v[74:75], v[44:45]
	v_mov_b32_e32 v75, v9
	v_pk_add_f32 v[94:95], v[82:83], v[74:75]
	v_add_f32_e32 v9, v64, v65
	v_pk_add_f32 v[94:95], v[94:95], v[84:85] neg_lo:[0,1] neg_hi:[0,1]
	v_pk_fma_f32 v[84:85], v[82:83], v[74:75], v[84:85]
	v_mul_f32_e32 v14, 0x3e9e377a, v9
	v_mov_b32_e32 v85, v95
	v_mov_b32_e32 v71, v81
	v_mul_f32_e32 v37, 0x3f737871, v82
	v_pk_mul_f32 v[58:59], v[58:59], s[2:3]
	v_pk_add_f32 v[64:65], v[14:15], v[84:85] op_sel_hi:[0,1]
	v_pk_add_f32 v[70:71], v[70:71], v[36:37]
	v_add_f32_e32 v9, v7, v43
	v_pk_add_f32 v[84:85], v[18:19], v[42:43] neg_lo:[0,1] neg_hi:[0,1]
	v_mov_b32_e32 v73, v43
	v_mov_b32_e32 v36, v43
	;; [unrolled: 1-line block ×3, first 2 shown]
	v_pk_add_f32 v[42:43], v[70:71], v[42:43]
	v_mov_b32_e32 v70, v18
	v_mov_b32_e32 v71, v58
	s_mov_b32 s12, s2
	s_mov_b32 s13, s6
	v_pk_add_f32 v[94:95], v[42:43], v[70:71]
	v_pk_mul_f32 v[42:43], v[52:53], s[12:13]
	v_mad_u32_u24 v102, v8, 40, 0
	v_pk_fma_f32 v[96:97], v[54:55], s[12:13], v[42:43] op_sel:[0,0,1] op_sel_hi:[1,1,0]
	v_pk_fma_f32 v[70:71], v[54:55], s[12:13], v[42:43] op_sel:[0,0,1] op_sel_hi:[1,1,0] neg_lo:[0,0,1] neg_hi:[0,0,1]
	v_pk_add_f32 v[42:43], v[94:95], v[78:79]
	v_mov_b32_e32 v97, v71
	v_pk_add_f32 v[98:99], v[64:65], v[96:97]
	v_fmac_f32_e32 v81, 0xbf737871, v82
	ds_write2_b64 v102, v[42:43], v[98:99] offset1:1
	v_pk_fma_f32 v[42:43], v[66:67], s[2:3], v[68:69] op_sel_hi:[1,0,1]
	v_sub_f32_e32 v13, v81, v59
	s_mov_b32 s10, 0x3f4f1bbd
	s_mov_b32 s11, s3
	v_add_f32_e32 v14, v58, v13
	v_pk_mul_f32 v[58:59], v[42:43], s[10:11]
	v_mov_b32_e32 v67, v96
	v_mov_b32_e32 v66, v79
	;; [unrolled: 1-line block ×5, first 2 shown]
	v_pk_add_f32 v[66:67], v[68:69], v[66:67] neg_lo:[0,1] neg_hi:[0,1]
	v_pk_fma_f32 v[68:69], v[42:43], s[10:11], v[18:19] neg_lo:[1,0,0] neg_hi:[1,0,0]
	v_pk_add_f32 v[78:79], v[94:95], v[78:79] neg_lo:[0,1] neg_hi:[0,1]
	v_pk_add_f32 v[58:59], v[14:15], v[68:69]
	v_mov_b32_e32 v18, v91
	v_mov_b32_e32 v59, v78
	ds_write2_b64 v102, v[58:59], v[66:67] offset0:2 offset1:3
	v_pk_add_f32 v[58:59], v[24:25], v[6:7]
	v_pk_add_f32 v[66:67], v[24:25], v[6:7] op_sel_hi:[0,1] neg_lo:[0,1] neg_hi:[0,1]
	v_mov_b32_e32 v59, v67
	v_pk_add_f32 v[66:67], v[30:31], v[32:33]
	s_waitcnt vmcnt(0)
	v_pk_add_f32 v[78:79], v[34:35], v[0:1] neg_lo:[0,1] neg_hi:[0,1]
	v_pk_fma_f32 v[66:67], v[66:67], 0.5, v[28:29] op_sel_hi:[1,0,1] neg_lo:[1,0,0] neg_hi:[1,0,0]
	v_pk_mul_f32 v[80:81], v[78:79], s[6:7] op_sel_hi:[1,0]
	v_pk_add_f32 v[82:83], v[90:91], v[18:19]
	v_mov_b32_e32 v88, v92
	v_pk_add_f32 v[90:91], v[80:81], v[66:67] op_sel:[1,0] op_sel_hi:[0,1]
	v_pk_add_f32 v[66:67], v[66:67], v[80:81] op_sel:[0,1] op_sel_hi:[1,0] neg_lo:[0,1] neg_hi:[0,1]
	v_pk_add_f32 v[80:81], v[34:35], v[32:33] neg_lo:[0,1] neg_hi:[0,1]
	v_pk_add_f32 v[92:93], v[0:1], v[30:31] neg_lo:[0,1] neg_hi:[0,1]
	v_mov_b32_e32 v84, v7
	v_pk_add_f32 v[92:93], v[92:93], v[80:81]
	v_pk_add_f32 v[80:81], v[32:33], v[30:31] neg_lo:[0,1] neg_hi:[0,1]
	v_pk_add_f32 v[84:85], v[58:59], v[84:85]
	v_pk_mul_f32 v[94:95], v[80:81], s[8:9] op_sel_hi:[1,0]
	v_mov_b32_e32 v98, v33
	v_pk_add_f32 v[58:59], v[66:67], v[94:95] op_sel:[0,1] op_sel_hi:[1,0] neg_lo:[0,1] neg_hi:[0,1]
	v_pk_add_f32 v[96:97], v[90:91], v[94:95] op_sel:[0,1] op_sel_hi:[1,0]
	v_pk_add_f32 v[66:67], v[34:35], v[28:29]
	v_mov_b32_e32 v96, v58
	v_mov_b32_e32 v58, v67
	v_pk_mul_f32 v[66:67], v[92:93], s[2:3] op_sel_hi:[1,0]
	v_pk_add_f32 v[100:101], v[32:33], v[34:35] neg_lo:[0,1] neg_hi:[0,1]
	v_mov_b32_e32 v99, v67
	v_pk_add_f32 v[58:59], v[98:99], v[58:59]
	v_pk_add_f32 v[98:99], v[34:35], v[0:1]
	v_mov_b32_e32 v35, v95
	v_mov_b32_e32 v91, v90
	;; [unrolled: 1-line block ×3, first 2 shown]
	v_pk_add_f32 v[34:35], v[34:35], v[90:91]
	v_mov_b32_e32 v33, v66
	v_mov_b32_e32 v86, v72
	v_pk_add_f32 v[66:67], v[32:33], v[34:35]
	v_pk_add_f32 v[32:33], v[38:39], v[46:47]
	v_mov_b32_e32 v38, v31
	v_pk_add_f32 v[34:35], v[30:31], v[0:1] neg_lo:[0,1] neg_hi:[0,1]
	v_mov_b32_e32 v31, v39
	v_pk_add_f32 v[90:91], v[30:31], v[66:67]
	v_pk_mul_f32 v[30:31], v[30:31], v[66:67]
	v_pk_mul_f32 v[86:87], v[86:87], s[6:7]
	;; [unrolled: 1-line block ×3, first 2 shown]
	s_mov_b32 s7, s2
	v_mov_b32_e32 v91, v31
	v_mul_f32_e32 v31, 0x3f167918, v59
	v_mov_b32_e32 v30, v0
	v_pk_fma_f32 v[28:29], v[98:99], 0.5, v[28:29] op_sel_hi:[1,0,1] neg_lo:[1,0,0] neg_hi:[1,0,0]
	v_pk_mul_f32 v[80:81], v[80:81], s[6:7] op_sel_hi:[1,0]
	v_pk_add_f32 v[30:31], v[30:31], v[90:91]
	v_pk_add_f32 v[90:91], v[80:81], v[28:29] op_sel:[1,0] op_sel_hi:[0,1]
	v_pk_add_f32 v[28:29], v[28:29], v[80:81] op_sel:[0,1] op_sel_hi:[1,0] neg_lo:[0,1] neg_hi:[0,1]
	v_pk_mul_f32 v[78:79], v[78:79], s[8:9] op_sel_hi:[1,0]
	v_add_f32_e32 v0, v20, v22
	v_pk_add_f32 v[34:35], v[34:35], v[100:101]
	v_pk_add_f32 v[80:81], v[90:91], v[78:79] op_sel:[0,1] op_sel_hi:[1,0] neg_lo:[0,1] neg_hi:[0,1]
	v_pk_add_f32 v[28:29], v[78:79], v[28:29] op_sel:[1,0] op_sel_hi:[0,1]
	v_mul_f32_e32 v27, 0.5, v0
	v_mov_b32_e32 v0, v17
	v_pk_fma_f32 v[78:79], v[34:35], s[2:3], v[80:81] op_sel_hi:[1,0,1]
	v_pk_fma_f32 v[80:81], v[34:35], s[2:3], v[28:29] op_sel_hi:[1,0,1]
	v_pk_add_f32 v[28:29], v[0:1], v[26:27] op_sel_hi:[0,1]
	v_pk_add_f32 v[34:35], v[0:1], v[26:27] op_sel_hi:[0,1] neg_lo:[0,1] neg_hi:[0,1]
	v_add_f32_e32 v0, v26, v2
	v_mul_f32_e32 v91, 0.5, v0
	v_mov_b32_e32 v90, v3
	v_pk_add_f32 v[26:27], v[4:5], v[22:23] neg_lo:[0,1] neg_hi:[0,1]
	v_pk_add_f32 v[90:91], v[16:17], v[90:91] neg_lo:[0,1] neg_hi:[0,1]
	v_mul_f32_e32 v75, 0x3f737871, v27
	v_pk_mul_f32 v[94:95], v[90:91], s[8:9]
	v_mov_b32_e32 v83, v27
	v_mov_b32_e32 v95, v94
	v_fmamk_f32 v94, v27, 0xbf737871, v91
	v_pk_add_f32 v[26:27], v[90:91], v[74:75]
	v_pk_fma_f32 v[74:75], v[90:91], v[74:75], v[94:95]
	v_pk_add_f32 v[26:27], v[26:27], v[94:95] neg_lo:[0,1] neg_hi:[0,1]
	v_add_f32_e32 v0, v76, v77
	v_mov_b32_e32 v29, v35
	v_mul_f32_e32 v21, 0x3f737871, v90
	v_mov_b32_e32 v75, v27
	v_mul_f32_e32 v0, 0x3e9e377a, v0
	v_pk_add_f32 v[20:21], v[28:29], v[20:21]
	v_pk_mul_f32 v[28:29], v[82:83], s[2:3]
	v_mov_b32_e32 v37, 0x3e9e377a
	v_pk_add_f32 v[26:27], v[0:1], v[74:75] op_sel_hi:[0,1]
	v_pk_add_f32 v[74:75], v[84:85], v[36:37]
	v_mov_b32_e32 v36, v23
	v_add_f32_e32 v66, v5, v23
	v_pk_add_f32 v[76:77], v[2:3], v[22:23] neg_lo:[0,1] neg_hi:[0,1]
	v_mov_b32_e32 v69, v23
	v_mov_b32_e32 v23, v29
	v_fmac_f32_e32 v35, 0xbf737871, v90
	v_pk_add_f32 v[20:21], v[20:21], v[22:23]
	v_mov_b32_e32 v22, v2
	v_mov_b32_e32 v23, v28
	v_pk_fma_f32 v[92:93], v[92:93], s[2:3], v[96:97] op_sel_hi:[1,0,1]
	v_sub_f32_e32 v0, v35, v29
	v_pk_add_f32 v[20:21], v[20:21], v[22:23]
	v_pk_mul_f32 v[22:23], v[78:79], s[12:13]
	v_add_f32_e32 v0, v28, v0
	v_pk_mul_f32 v[28:29], v[92:93], s[10:11]
	v_pk_fma_f32 v[82:83], v[80:81], s[12:13], v[22:23] op_sel:[0,0,1] op_sel_hi:[1,1,0]
	v_pk_fma_f32 v[22:23], v[80:81], s[12:13], v[22:23] op_sel:[0,0,1] op_sel_hi:[1,1,0] neg_lo:[0,0,1] neg_hi:[0,0,1]
	v_mov_b32_e32 v2, v29
	v_mov_b32_e32 v83, v23
	v_pk_fma_f32 v[28:29], v[92:93], s[10:11], v[2:3] neg_lo:[1,0,0] neg_hi:[1,0,0]
	v_pk_add_f32 v[94:95], v[20:21], v[30:31]
	v_pk_add_f32 v[98:99], v[26:27], v[82:83]
	v_mov_b32_e32 v83, v82
	v_mov_b32_e32 v82, v31
	v_pk_add_f32 v[30:31], v[20:21], v[30:31] neg_lo:[0,1] neg_hi:[0,1]
	v_mov_b32_e32 v20, v21
	v_mov_b32_e32 v21, v26
	v_pk_add_f32 v[34:35], v[0:1], v[28:29]
	v_pk_add_f32 v[20:21], v[20:21], v[82:83] neg_lo:[0,1] neg_hi:[0,1]
	v_mov_b32_e32 v35, v30
	v_add_u32_e32 v82, 0x1910, v102
	v_mov_b32_e32 v72, v7
	v_mov_b32_e32 v25, v19
	v_fmac_f32_e32 v6, -0.5, v9
	s_mov_b32 s13, s2
	ds_write2_b64 v82, v[34:35], v[20:21] offset1:1
	v_pk_add_f32 v[20:21], v[72:73], v[24:25] neg_lo:[0,1] neg_hi:[0,1]
	v_pk_add_f32 v[24:25], v[62:63], v[60:61] neg_lo:[0,1] neg_hi:[0,1]
	v_sub_f32_e32 v2, v6, v86
	v_pk_mul_f32 v[60:61], v[84:85], s[12:13]
	v_mov_b32_e32 v18, v19
	v_sub_f32_e32 v19, v2, v87
	v_mov_b32_e32 v75, v61
	v_pk_add_f32 v[62:63], v[74:75], v[18:19]
	v_mul_f32_e32 v19, 0x3f167918, v51
	v_mov_b32_e32 v18, v15
	s_mov_b32 s11, s10
	v_pk_add_f32 v[72:73], v[32:33], v[18:19]
	v_pk_fma_f32 v[74:75], v[46:47], s[10:11], v[18:19] neg_lo:[0,0,1] neg_hi:[0,0,1]
	s_mov_b32 s8, 0xbf737871
	s_mov_b32 s9, s2
	v_pk_mul_f32 v[18:19], v[54:55], s[6:7]
	v_mov_b32_e32 v15, v68
	v_pk_fma_f32 v[54:55], v[52:53], s[8:9], v[18:19] op_sel:[0,0,1] op_sel_hi:[1,1,0] neg_lo:[0,0,1] neg_hi:[0,0,1]
	v_mov_b32_e32 v18, v65
	v_mov_b32_e32 v19, v14
	;; [unrolled: 1-line block ×3, first 2 shown]
	v_add_f32_e32 v2, v20, v21
	v_pk_add_f32 v[14:15], v[18:19], v[14:15] neg_lo:[0,1] neg_hi:[0,1]
	v_mov_b32_e32 v57, v25
	v_mul_f32_e32 v2, 0x3e9e377a, v2
	ds_write_b64 v102, v[14:15] offset:32
	v_mov_b32_e32 v14, v27
	v_mov_b32_e32 v15, v0
	;; [unrolled: 1-line block ×4, first 2 shown]
	v_pk_add_f32 v[56:57], v[2:3], v[56:57] op_sel_hi:[0,1]
	v_pk_add_f32 v[14:15], v[14:15], v[18:19] neg_lo:[0,1] neg_hi:[0,1]
	ds_write_b64 v102, v[14:15] offset:6432
	v_pk_add_f32 v[14:15], v[56:57], v[54:55]
	s_movk_i32 s2, 0xffdc
	v_add_f32_e32 v0, v6, v86
	v_mov_b32_e32 v65, v14
	v_mov_b32_e32 v73, v75
	v_mad_i32_i24 v44, v8, s2, v102
	v_add_u32_e32 v14, 0x140, v8
	v_add_f32_e32 v0, v87, v0
	s_mov_b32 s2, 0xbf167918
	v_mul_f32_e32 v2, 0x3f4f1bbd, v43
	v_add_u32_e32 v91, 0x1900, v102
	v_mov_b32_e32 v64, v15
	v_lshl_add_u32 v46, v14, 2, 0
	v_pk_add_f32 v[70:71], v[62:63], v[72:73]
	v_fma_f32 v6, v42, s2, -v2
	v_mov_b32_e32 v7, v72
	v_add_f32_e32 v42, v61, v0
	v_mov_b32_e32 v43, v62
	v_mov_b32_e32 v60, v63
	;; [unrolled: 1-line block ×5, first 2 shown]
	ds_write2_b64 v91, v[94:95], v[98:99] offset1:1
	s_waitcnt lgkmcnt(0)
	s_barrier
	v_lshl_add_u32 v47, v12, 2, 0
	v_add_u32_e32 v90, 0x700, v44
	v_add_u32_e32 v9, 0xc00, v44
	ds_read_b32 v94, v46
	ds_read_b32 v95, v47
	v_add_u32_e32 v50, 0x1800, v44
	v_add_u32_e32 v51, 0x1e00, v44
	;; [unrolled: 1-line block ×6, first 2 shown]
	ds_read2_b32 v[18:19], v44 offset1:160
	ds_read2_b32 v[24:25], v90 offset0:32 offset1:192
	ds_read2_b32 v[22:23], v9 offset0:32 offset1:192
	;; [unrolled: 1-line block ×3, first 2 shown]
	ds_read2_b32 v[30:31], v51 offset1:160
	ds_read2_b32 v[28:29], v52 offset0:64 offset1:224
	ds_read2_b32 v[26:27], v53 offset1:160
	ds_read2_b32 v[20:21], v13 offset0:64 offset1:224
	ds_read2st64_b32 v[34:35], v96 offset0:17 offset1:22
	s_waitcnt lgkmcnt(0)
	s_barrier
	ds_write2_b64 v102, v[70:71], v[64:65] offset1:1
	v_pk_add_f32 v[60:61], v[60:61], v[62:63] neg_lo:[0,1] neg_hi:[0,1]
	v_pk_add_f32 v[62:63], v[42:43], v[6:7]
	v_pk_add_f32 v[64:65], v[42:43], v[6:7] neg_lo:[0,1] neg_hi:[0,1]
	v_mov_b32_e32 v76, v5
	v_mov_b32_e32 v63, v65
	ds_write2_b64 v102, v[62:63], v[60:61] offset0:2 offset1:3
	v_pk_add_f32 v[60:61], v[16:17], v[4:5]
	v_pk_add_f32 v[62:63], v[16:17], v[4:5] op_sel_hi:[0,1] neg_lo:[0,1] neg_hi:[0,1]
	v_mov_b32_e32 v61, v63
	v_fmac_f32_e32 v4, -0.5, v66
	v_mov_b32_e32 v57, v42
	v_pk_add_f32 v[42:43], v[60:61], v[76:77]
	v_add_f32_e32 v2, v4, v88
	v_mov_b32_e32 v17, v3
	v_sub_f32_e32 v0, v4, v88
	v_add_f32_e32 v15, v89, v2
	v_mov_b32_e32 v4, v3
	v_pk_add_f32 v[2:3], v[42:43], v[36:37]
	v_pk_mul_f32 v[36:37], v[42:43], s[12:13]
	v_mov_b32_e32 v68, v5
	v_sub_f32_e32 v5, v0, v89
	v_mov_b32_e32 v3, v37
	v_pk_add_f32 v[2:3], v[2:3], v[4:5]
	v_mul_f32_e32 v5, 0x3f167918, v67
	v_mov_b32_e32 v4, v1
	v_pk_add_f32 v[0:1], v[38:39], v[58:59]
	v_pk_add_f32 v[16:17], v[68:69], v[16:17] neg_lo:[0,1] neg_hi:[0,1]
	v_pk_add_f32 v[0:1], v[0:1], v[4:5]
	v_pk_fma_f32 v[4:5], v[58:59], s[10:11], v[4:5] neg_lo:[0,0,1] neg_hi:[0,0,1]
	v_pk_add_f32 v[48:49], v[48:49], v[44:45] neg_lo:[0,1] neg_hi:[0,1]
	v_add_f32_e32 v1, v16, v17
	v_mul_f32_e32 v4, 0x3f4f1bbd, v93
	v_mov_b32_e32 v41, v49
	v_fma_f32 v16, v92, s2, -v4
	v_mul_f32_e32 v4, 0x3e9e377a, v1
	v_pk_mul_f32 v[42:43], v[80:81], s[6:7]
	v_mov_b32_e32 v55, v6
	v_pk_add_f32 v[38:39], v[4:5], v[40:41] op_sel_hi:[0,1]
	v_pk_fma_f32 v[42:43], v[78:79], s[8:9], v[42:43] op_sel:[0,0,1] op_sel_hi:[1,1,0] neg_lo:[0,0,1] neg_hi:[0,0,1]
	v_pk_add_f32 v[6:7], v[56:57], v[54:55] neg_lo:[0,1] neg_hi:[0,1]
	v_mov_b32_e32 v1, v5
	v_pk_add_f32 v[48:49], v[38:39], v[42:43]
	v_add_f32_e32 v36, v37, v15
	v_pk_add_f32 v[40:41], v[2:3], v[0:1]
	ds_write_b64 v102, v[6:7] offset:32
	v_mov_b32_e32 v6, v49
	v_mov_b32_e32 v7, v48
	;; [unrolled: 1-line block ×4, first 2 shown]
	ds_write2_b64 v91, v[40:41], v[6:7] offset1:1
	v_pk_add_f32 v[0:1], v[36:37], v[16:17]
	v_pk_add_f32 v[6:7], v[36:37], v[16:17] neg_lo:[0,1] neg_hi:[0,1]
	v_mov_b32_e32 v2, v3
	v_mov_b32_e32 v3, v39
	;; [unrolled: 1-line block ×4, first 2 shown]
	v_pk_add_f32 v[2:3], v[2:3], v[4:5] neg_lo:[0,1] neg_hi:[0,1]
	v_mov_b32_e32 v1, v7
	v_mov_b32_e32 v39, v36
	;; [unrolled: 1-line block ×3, first 2 shown]
	ds_write2_b64 v82, v[0:1], v[2:3] offset1:1
	v_pk_add_f32 v[0:1], v[38:39], v[42:43] neg_lo:[0,1] neg_hi:[0,1]
	s_movk_i32 s7, 0xcd
	ds_write_b64 v102, v[0:1] offset:6432
	v_mul_lo_u16_sdwa v0, v8, s7 dst_sel:DWORD dst_unused:UNUSED_PAD src0_sel:BYTE_0 src1_sel:DWORD
	v_lshrrev_b16_e32 v36, 11, v0
	v_mul_lo_u16_e32 v0, 10, v36
	v_sub_u16_e32 v37, v8, v0
	v_mov_b32_e32 v0, 9
	v_mul_u32_u24_sdwa v0, v37, v0 dst_sel:DWORD dst_unused:UNUSED_PAD src0_sel:BYTE_0 src1_sel:DWORD
	v_lshlrev_b32_e32 v6, 3, v0
	s_waitcnt lgkmcnt(0)
	s_barrier
	global_load_dwordx4 v[0:3], v6, s[4:5] offset:32
	v_add_u32_e32 v15, 0xa0, v8
	s_mov_b32 s7, 0xcccd
	v_mul_u32_u24_sdwa v4, v15, s7 dst_sel:DWORD dst_unused:UNUSED_PAD src0_sel:WORD_0 src1_sel:DWORD
	v_lshrrev_b32_e32 v4, 19, v4
	v_mul_lo_u16_e32 v5, 10, v4
	v_sub_u16_e32 v5, v15, v5
	v_mul_u32_u24_e32 v7, 9, v5
	v_lshlrev_b32_e32 v16, 3, v7
	global_load_dwordx4 v[54:57], v16, s[4:5] offset:16
	global_load_dwordx4 v[58:61], v16, s[4:5] offset:32
	;; [unrolled: 1-line block ×4, first 2 shown]
	global_load_dwordx4 v[70:73], v6, s[4:5]
	global_load_dwordx4 v[74:77], v16, s[4:5]
	global_load_dwordx4 v[78:81], v6, s[4:5] offset:16
	global_load_dwordx2 v[82:83], v6, s[4:5] offset:64
	global_load_dwordx2 v[84:85], v16, s[4:5] offset:64
	ds_read2_b32 v[6:7], v50 offset0:64 offset1:224
	ds_read2_b32 v[16:17], v51 offset1:160
	v_mul_u32_u24_e32 v36, 0x190, v36
	v_mul_u32_u24_e32 v4, 0x190, v4
	v_lshlrev_b32_e32 v5, 2, v5
	v_add3_u32 v4, 0, v4, v5
	s_waitcnt vmcnt(9) lgkmcnt(1)
	v_mul_f32_e32 v38, v6, v1
	v_fma_f32 v43, v32, v0, -v38
	ds_read2st64_b32 v[38:39], v96 offset0:17 offset1:22
	v_mul_f32_e32 v32, v32, v1
	v_fmac_f32_e32 v32, v6, v0
	s_waitcnt lgkmcnt(1)
	v_mul_f32_e32 v0, v16, v3
	v_fma_f32 v40, v30, v2, -v0
	s_waitcnt vmcnt(8) lgkmcnt(0)
	v_mul_f32_e32 v0, v38, v55
	v_mul_f32_e32 v41, v34, v55
	;; [unrolled: 1-line block ×3, first 2 shown]
	v_fma_f32 v42, v34, v54, -v0
	v_mul_f32_e32 v0, v39, v57
	v_fmac_f32_e32 v41, v38, v54
	v_fmac_f32_e32 v1, v39, v56
	ds_read2_b32 v[38:39], v52 offset0:64 offset1:224
	ds_read2_b32 v[54:55], v53 offset1:160
	v_mul_f32_e32 v6, v30, v3
	v_fma_f32 v34, v35, v56, -v0
	s_waitcnt vmcnt(7)
	v_mul_f32_e32 v0, v7, v59
	s_waitcnt vmcnt(6) lgkmcnt(1)
	v_mul_f32_e32 v3, v38, v63
	v_fmac_f32_e32 v6, v16, v2
	v_fma_f32 v35, v33, v58, -v0
	v_mul_f32_e32 v0, v33, v59
	v_mul_f32_e32 v2, v17, v61
	v_fma_f32 v48, v28, v62, -v3
	s_waitcnt lgkmcnt(0)
	v_mul_f32_e32 v3, v54, v65
	v_fmac_f32_e32 v0, v7, v58
	v_fma_f32 v33, v31, v60, -v2
	v_mul_f32_e32 v2, v31, v61
	v_fma_f32 v30, v26, v64, -v3
	s_waitcnt vmcnt(5)
	v_mul_f32_e32 v3, v39, v67
	v_mul_f32_e32 v7, v55, v69
	v_fmac_f32_e32 v2, v17, v60
	v_mul_f32_e32 v17, v26, v65
	v_fma_f32 v31, v29, v66, -v3
	v_mul_f32_e32 v3, v29, v67
	v_fma_f32 v29, v27, v68, -v7
	v_mul_f32_e32 v7, v27, v69
	v_fmac_f32_e32 v17, v54, v64
	ds_read_b32 v16, v46
	v_fmac_f32_e32 v7, v55, v68
	ds_read_b32 v45, v47
	ds_read2_b32 v[54:55], v90 offset0:32 offset1:192
	ds_read2_b32 v[56:57], v9 offset0:32 offset1:192
	v_fmac_f32_e32 v3, v39, v66
	s_waitcnt vmcnt(4)
	v_mul_f32_e32 v39, v94, v71
	v_mul_f32_e32 v28, v28, v63
	s_waitcnt lgkmcnt(3)
	v_mul_f32_e32 v26, v16, v71
	v_fmac_f32_e32 v39, v16, v70
	s_waitcnt lgkmcnt(1)
	v_mul_f32_e32 v16, v55, v73
	v_fmac_f32_e32 v28, v38, v62
	v_fma_f32 v38, v94, v70, -v26
	v_fma_f32 v26, v25, v72, -v16
	s_waitcnt vmcnt(3)
	v_mul_f32_e32 v16, v54, v75
	v_mul_f32_e32 v49, v25, v73
	v_fma_f32 v25, v24, v74, -v16
	s_waitcnt lgkmcnt(0)
	v_mul_f32_e32 v16, v56, v77
	v_fma_f32 v27, v22, v76, -v16
	v_mul_f32_e32 v16, v22, v77
	s_waitcnt vmcnt(2)
	v_mul_f32_e32 v58, v23, v79
	v_fmac_f32_e32 v16, v56, v76
	v_mul_f32_e32 v22, v57, v79
	v_fmac_f32_e32 v58, v57, v78
	ds_read2_b32 v[56:57], v13 offset0:64 offset1:224
	v_fmac_f32_e32 v49, v55, v72
	v_fma_f32 v55, v23, v78, -v22
	v_mul_f32_e32 v22, v45, v81
	v_mul_f32_e32 v24, v24, v75
	v_fma_f32 v23, v95, v80, -v22
	s_waitcnt vmcnt(1) lgkmcnt(0)
	v_mul_f32_e32 v22, v56, v83
	v_fmac_f32_e32 v24, v54, v74
	v_mul_f32_e32 v54, v95, v81
	v_fma_f32 v59, v20, v82, -v22
	v_mul_f32_e32 v22, v20, v83
	s_waitcnt vmcnt(0)
	v_mul_f32_e32 v20, v57, v85
	v_fmac_f32_e32 v54, v45, v80
	v_fma_f32 v45, v21, v84, -v20
	v_mul_f32_e32 v20, v21, v85
	v_fmac_f32_e32 v22, v56, v82
	v_fmac_f32_e32 v20, v57, v84
	v_add_f32_e32 v56, v34, v33
	v_add_f32_e32 v57, v27, v29
	;; [unrolled: 1-line block ×3, first 2 shown]
	v_fma_f32 v56, -0.5, v56, v19
	v_fmac_f32_e32 v19, -0.5, v57
	v_sub_f32_e32 v57, v34, v27
	v_sub_f32_e32 v60, v33, v29
	v_add_f32_e32 v57, v57, v60
	v_add_f32_e32 v60, v35, v31
	;; [unrolled: 1-line block ×3, first 2 shown]
	v_fma_f32 v60, -0.5, v60, v25
	v_add_f32_e32 v61, v25, v42
	v_fmac_f32_e32 v25, -0.5, v62
	v_sub_f32_e32 v62, v35, v42
	v_sub_f32_e32 v63, v31, v45
	v_add_f32_e32 v62, v62, v63
	v_add_f32_e32 v63, v0, v3
	;; [unrolled: 1-line block ×3, first 2 shown]
	v_sub_f32_e32 v71, v0, v3
	v_fma_f32 v63, -0.5, v63, v24
	v_add_f32_e32 v64, v24, v41
	v_fmac_f32_e32 v24, -0.5, v65
	v_fmamk_f32 v72, v71, 0xbf737871, v25
	v_fmac_f32_e32 v25, 0x3f737871, v71
	v_sub_f32_e32 v73, v41, v20
	v_sub_f32_e32 v74, v35, v31
	;; [unrolled: 1-line block ×5, first 2 shown]
	v_fmac_f32_e32 v25, 0xbf167918, v73
	v_fmamk_f32 v75, v74, 0x3f737871, v24
	v_fmac_f32_e32 v24, 0xbf737871, v74
	v_sub_f32_e32 v76, v42, v45
	v_add_f32_e32 v65, v65, v66
	v_fmamk_f32 v69, v68, 0xbf737871, v19
	v_fmac_f32_e32 v19, 0x3f737871, v68
	v_sub_f32_e32 v70, v16, v7
	v_fmac_f32_e32 v25, 0x3e9e377a, v62
	v_fmac_f32_e32 v24, 0x3f167918, v76
	;; [unrolled: 1-line block ×4, first 2 shown]
	v_mul_f32_e32 v77, 0x3e9e377a, v25
	v_fmac_f32_e32 v19, 0x3e9e377a, v57
	v_fma_f32 v77, v24, s6, -v77
	v_add_f32_e32 v78, v19, v77
	v_sub_f32_e32 v77, v19, v77
	v_sub_f32_e32 v19, v26, v23
	;; [unrolled: 1-line block ×3, first 2 shown]
	v_add_f32_e32 v66, v23, v40
	v_add_f32_e32 v67, v26, v30
	;; [unrolled: 1-line block ×3, first 2 shown]
	v_sub_f32_e32 v19, v55, v43
	v_sub_f32_e32 v80, v59, v48
	v_fma_f32 v66, -0.5, v66, v18
	v_fma_f32 v67, -0.5, v67, v18
	v_add_f32_e32 v18, v18, v26
	v_add_f32_e32 v80, v19, v80
	v_sub_f32_e32 v19, v58, v32
	v_sub_f32_e32 v81, v22, v28
	v_add_f32_e32 v81, v19, v81
	v_mov_b32_e32 v19, 2
	v_add_f32_e32 v18, v18, v23
	v_lshlrev_b32_sdwa v19, v19, v37 dst_sel:DWORD dst_unused:UNUSED_PAD src0_sel:DWORD src1_sel:BYTE_0
	v_add_f32_e32 v18, v18, v40
	v_add3_u32 v82, 0, v36, v19
	v_add_f32_e32 v36, v18, v30
	v_add_f32_e32 v18, v38, v55
	;; [unrolled: 1-line block ×6, first 2 shown]
	v_fma_f32 v86, -0.5, v18, v38
	v_add_f32_e32 v18, v32, v28
	v_fma_f32 v90, -0.5, v18, v39
	v_sub_f32_e32 v91, v55, v59
	v_sub_f32_e32 v87, v58, v22
	v_fmamk_f32 v92, v91, 0xbf737871, v90
	v_sub_f32_e32 v93, v43, v48
	v_sub_f32_e32 v37, v49, v17
	v_fmamk_f32 v88, v87, 0x3f737871, v86
	v_sub_f32_e32 v89, v32, v28
	v_fmac_f32_e32 v92, 0xbf167918, v93
	v_fmamk_f32 v83, v37, 0x3f737871, v66
	v_sub_f32_e32 v84, v54, v6
	v_fmac_f32_e32 v88, 0x3f167918, v89
	v_fmac_f32_e32 v92, 0x3e9e377a, v81
	;; [unrolled: 1-line block ×4, first 2 shown]
	v_mul_f32_e32 v94, 0x3f167918, v92
	v_fmac_f32_e32 v83, 0x3e9e377a, v79
	v_fmac_f32_e32 v94, 0x3f4f1bbd, v88
	v_add_f32_e32 v95, v36, v85
	v_add_f32_e32 v96, v83, v94
	ds_read2_b32 v[18:19], v44 offset1:160
	s_waitcnt lgkmcnt(0)
	s_barrier
	ds_write2_b32 v82, v95, v96 offset1:10
	v_sub_f32_e32 v95, v23, v26
	v_sub_f32_e32 v96, v40, v30
	v_add_f32_e32 v95, v95, v96
	v_fmamk_f32 v96, v84, 0xbf737871, v67
	v_fmac_f32_e32 v67, 0x3f737871, v84
	v_fmac_f32_e32 v96, 0x3f167918, v37
	;; [unrolled: 1-line block ×5, first 2 shown]
	v_add_f32_e32 v95, v55, v59
	v_fmac_f32_e32 v38, -0.5, v95
	v_sub_f32_e32 v43, v43, v55
	v_sub_f32_e32 v48, v48, v59
	v_fmamk_f32 v59, v89, 0xbf737871, v38
	v_fmac_f32_e32 v38, 0x3f737871, v89
	v_add_f32_e32 v43, v43, v48
	v_fmac_f32_e32 v59, 0x3f167918, v87
	v_fmac_f32_e32 v38, 0xbf167918, v87
	v_add_f32_e32 v48, v58, v22
	v_fmac_f32_e32 v59, 0x3e9e377a, v43
	v_fmac_f32_e32 v38, 0x3e9e377a, v43
	v_add_f32_e32 v43, v39, v58
	v_fmac_f32_e32 v39, -0.5, v48
	v_fmac_f32_e32 v86, 0xbf737871, v87
	v_sub_f32_e32 v48, v32, v58
	v_sub_f32_e32 v55, v28, v22
	v_fmamk_f32 v58, v93, 0x3f737871, v39
	v_fmac_f32_e32 v86, 0xbf167918, v89
	v_fmac_f32_e32 v90, 0x3f737871, v91
	v_add_f32_e32 v48, v48, v55
	v_fmac_f32_e32 v58, 0xbf167918, v91
	v_fmac_f32_e32 v39, 0xbf737871, v93
	;; [unrolled: 1-line block ×9, first 2 shown]
	v_mul_f32_e32 v37, 0x3f4f1bbd, v86
	v_fmac_f32_e32 v39, 0x3e9e377a, v48
	v_mul_f32_e32 v48, 0x3f737871, v58
	v_fmac_f32_e32 v66, 0x3e9e377a, v79
	v_fma_f32 v37, v90, s3, -v37
	v_fmac_f32_e32 v48, 0x3e9e377a, v59
	v_mul_f32_e32 v55, 0x3e9e377a, v38
	v_sub_f32_e32 v36, v36, v85
	v_add_f32_e32 v79, v66, v37
	v_fma_f32 v55, v39, s6, -v55
	v_add_f32_e32 v95, v96, v48
	ds_write2_b32 v82, v79, v36 offset0:40 offset1:50
	v_sub_f32_e32 v36, v83, v94
	v_sub_f32_e32 v48, v96, v48
	ds_write2_b32 v82, v36, v48 offset0:60 offset1:70
	v_sub_f32_e32 v36, v67, v55
	v_sub_f32_e32 v37, v66, v37
	;; [unrolled: 3-line block ×3, first 2 shown]
	v_add_f32_e32 v36, v36, v37
	v_add_f32_e32 v37, v61, v35
	v_sub_f32_e32 v35, v42, v35
	v_add_f32_e32 v37, v37, v31
	v_sub_f32_e32 v31, v45, v31
	;; [unrolled: 2-line block ×3, first 2 shown]
	v_sub_f32_e32 v41, v20, v3
	v_fmamk_f32 v66, v76, 0xbf737871, v63
	v_add_f32_e32 v35, v35, v41
	v_fmamk_f32 v61, v73, 0x3f737871, v60
	v_fmac_f32_e32 v66, 0xbf167918, v74
	v_add_f32_e32 v5, v21, v34
	v_fmamk_f32 v21, v70, 0x3f737871, v56
	v_fmac_f32_e32 v61, 0x3f167918, v71
	v_fmac_f32_e32 v66, 0x3e9e377a, v35
	;; [unrolled: 1-line block ×3, first 2 shown]
	v_add_f32_e32 v5, v5, v33
	v_fmac_f32_e32 v21, 0x3f167918, v68
	v_fmac_f32_e32 v61, 0x3e9e377a, v31
	v_mul_f32_e32 v41, 0x3f167918, v66
	v_fmac_f32_e32 v60, 0xbf167918, v71
	v_fmac_f32_e32 v63, 0x3f737871, v76
	v_add_f32_e32 v37, v37, v45
	v_add_f32_e32 v5, v5, v29
	v_fmac_f32_e32 v21, 0x3e9e377a, v36
	v_fmac_f32_e32 v41, 0x3f4f1bbd, v61
	;; [unrolled: 1-line block ×6, first 2 shown]
	v_add_f32_e32 v97, v67, v55
	v_add_f32_e32 v42, v5, v37
	;; [unrolled: 1-line block ×3, first 2 shown]
	v_fmac_f32_e32 v72, 0x3f167918, v73
	v_fmac_f32_e32 v75, 0x3e9e377a, v65
	v_fmac_f32_e32 v56, 0xbf167918, v68
	v_fmac_f32_e32 v63, 0x3e9e377a, v35
	v_mul_f32_e32 v31, 0x3f4f1bbd, v60
	ds_write2_b32 v82, v95, v97 offset0:20 offset1:30
	ds_write2_b32 v4, v42, v45 offset1:10
	v_fmac_f32_e32 v69, 0x3f167918, v70
	v_fmac_f32_e32 v72, 0x3e9e377a, v62
	v_mul_f32_e32 v42, 0x3f737871, v75
	v_fmac_f32_e32 v56, 0x3e9e377a, v36
	v_fma_f32 v31, v63, s3, -v31
	v_fmac_f32_e32 v69, 0x3e9e377a, v57
	v_fmac_f32_e32 v42, 0x3e9e377a, v72
	v_sub_f32_e32 v5, v5, v37
	v_add_f32_e32 v35, v56, v31
	ds_write2_b32 v4, v35, v5 offset0:40 offset1:50
	v_sub_f32_e32 v5, v21, v41
	v_sub_f32_e32 v21, v69, v42
	ds_write2_b32 v4, v5, v21 offset0:60 offset1:70
	v_add_f32_e32 v21, v1, v2
	v_sub_f32_e32 v5, v56, v31
	v_fma_f32 v65, -0.5, v21, v19
	v_add_f32_e32 v21, v16, v7
	ds_write2_b32 v4, v77, v5 offset0:80 offset1:90
	v_sub_f32_e32 v5, v27, v29
	v_add_f32_e32 v57, v19, v16
	v_fmac_f32_e32 v19, -0.5, v21
	v_sub_f32_e32 v21, v1, v16
	v_sub_f32_e32 v27, v2, v7
	v_add_f32_e32 v67, v21, v27
	v_mul_f32_e32 v21, 0x3e9e377a, v24
	v_add_f32_e32 v24, v54, v6
	v_sub_f32_e32 v62, v34, v33
	v_fma_f32 v68, -0.5, v24, v18
	v_add_f32_e32 v24, v49, v17
	v_add_f32_e32 v45, v69, v42
	v_fma_f32 v69, -0.5, v24, v18
	v_fmamk_f32 v70, v62, 0x3f737871, v19
	v_fmac_f32_e32 v19, 0xbf737871, v62
	v_add_f32_e32 v18, v18, v49
	v_fmac_f32_e32 v19, 0x3f167918, v5
	v_add_f32_e32 v18, v18, v54
	v_fma_f32 v21, v25, s8, -v21
	v_fmac_f32_e32 v19, 0x3e9e377a, v67
	v_sub_f32_e32 v76, v23, v40
	v_add_f32_e32 v18, v18, v6
	ds_write2_b32 v4, v45, v78 offset0:20 offset1:30
	v_add_f32_e32 v71, v19, v21
	v_sub_f32_e32 v73, v19, v21
	v_sub_f32_e32 v74, v26, v30
	;; [unrolled: 1-line block ×4, first 2 shown]
	v_add_f32_e32 v78, v18, v17
	v_sub_f32_e32 v49, v54, v49
	v_sub_f32_e32 v6, v6, v17
	v_fmamk_f32 v17, v76, 0x3f737871, v69
	v_fmac_f32_e32 v69, 0xbf737871, v76
	v_add_f32_e32 v6, v49, v6
	v_fmac_f32_e32 v17, 0xbf167918, v74
	v_fmac_f32_e32 v69, 0x3f167918, v74
	;; [unrolled: 1-line block ×4, first 2 shown]
	v_mul_f32_e32 v6, 0xbf737871, v59
	v_mul_f32_e32 v39, 0x3e9e377a, v39
	v_add_f32_e32 v77, v19, v21
	v_add_f32_e32 v19, v43, v32
	v_add_u32_e32 v18, 0x1e0, v8
	v_fmac_f32_e32 v6, 0x3e9e377a, v58
	v_fma_f32 v38, v38, s8, -v39
	v_add_f32_e32 v19, v19, v28
	v_fmamk_f32 v80, v74, 0xbf737871, v68
	v_lshl_add_u32 v48, v18, 2, 0
	v_add_f32_e32 v39, v17, v6
	v_add_f32_e32 v49, v69, v38
	v_fmac_f32_e32 v68, 0x3f737871, v74
	v_add_f32_e32 v79, v19, v22
	s_waitcnt lgkmcnt(0)
	s_barrier
	v_lshl_add_u32 v45, v8, 2, 0
	v_add_u32_e32 v43, 0x1600, v44
	v_add_u32_e32 v21, 0x2500, v44
	;; [unrolled: 1-line block ×6, first 2 shown]
	ds_read_b32 v55, v48
	ds_read_b32 v83, v45 offset:3200
	ds_read_b32 v56, v46
	ds_read_b32 v84, v44 offset:12160
	ds_read2_b32 v[24:25], v44 offset1:160
	ds_read2_b32 v[36:37], v43 offset0:32 offset1:192
	ds_read2_b32 v[28:29], v21 offset0:32 offset1:192
	ds_read2st64_b32 v[22:23], v44 offset0:10 offset1:15
	ds_read2_b32 v[30:31], v40 offset0:32 offset1:192
	ds_read2_b32 v[32:33], v41 offset0:32 offset1:192
	;; [unrolled: 1-line block ×4, first 2 shown]
	s_waitcnt lgkmcnt(0)
	s_barrier
	ds_write2_b32 v82, v39, v49 offset0:20 offset1:30
	v_fmac_f32_e32 v68, 0x3f167918, v76
	v_mul_f32_e32 v39, 0x3f4f1bbd, v90
	v_fmac_f32_e32 v80, 0xbf167918, v76
	v_mul_f32_e32 v81, 0xbf167918, v88
	v_fmac_f32_e32 v68, 0x3e9e377a, v77
	v_fma_f32 v39, v86, s2, -v39
	v_fmac_f32_e32 v80, 0x3e9e377a, v77
	v_fmac_f32_e32 v81, 0x3f4f1bbd, v92
	v_sub_f32_e32 v49, v78, v79
	v_add_f32_e32 v54, v68, v39
	ds_write2_b32 v82, v54, v49 offset0:40 offset1:50
	v_sub_f32_e32 v49, v80, v81
	v_sub_f32_e32 v6, v17, v6
	ds_write2_b32 v82, v49, v6 offset0:60 offset1:70
	v_sub_f32_e32 v6, v69, v38
	v_add_f32_e32 v38, v57, v1
	v_sub_f32_e32 v1, v16, v1
	v_add_f32_e32 v16, v38, v2
	;; [unrolled: 2-line block ×3, first 2 shown]
	v_fmamk_f32 v2, v5, 0xbf737871, v65
	v_fmac_f32_e32 v65, 0x3f737871, v5
	v_add_f32_e32 v0, v64, v0
	v_fmac_f32_e32 v2, 0xbf167918, v62
	v_fmac_f32_e32 v65, 0x3f167918, v62
	v_add_f32_e32 v0, v0, v3
	v_add_f32_e32 v16, v16, v7
	v_fmac_f32_e32 v2, 0x3e9e377a, v1
	v_fmac_f32_e32 v65, 0x3e9e377a, v1
	;; [unrolled: 1-line block ×3, first 2 shown]
	v_add_f32_e32 v0, v0, v20
	v_mul_f32_e32 v1, 0xbf167918, v61
	v_mul_f32_e32 v3, 0xbf737871, v72
	;; [unrolled: 1-line block ×3, first 2 shown]
	v_add_f32_e32 v85, v78, v79
	v_add_f32_e32 v87, v80, v81
	v_sub_f32_e32 v17, v68, v39
	v_fmac_f32_e32 v70, 0x3e9e377a, v67
	v_fmac_f32_e32 v1, 0x3f4f1bbd, v66
	;; [unrolled: 1-line block ×3, first 2 shown]
	v_fma_f32 v5, v60, s2, -v5
	v_add_f32_e32 v7, v16, v0
	v_sub_f32_e32 v0, v16, v0
	s_movk_i32 s2, 0x64
	ds_write2_b32 v82, v85, v87 offset1:10
	v_add_f32_e32 v16, v2, v1
	v_sub_f32_e32 v1, v2, v1
	v_add_f32_e32 v2, v70, v3
	v_sub_f32_e32 v3, v70, v3
	;; [unrolled: 2-line block ×3, first 2 shown]
	ds_write2_b32 v82, v6, v17 offset0:80 offset1:90
	ds_write2_b32 v4, v7, v16 offset1:10
	ds_write2_b32 v4, v2, v71 offset0:20 offset1:30
	ds_write2_b32 v4, v20, v0 offset0:40 offset1:50
	;; [unrolled: 1-line block ×4, first 2 shown]
	v_add_u32_e32 v0, 0xffffff9c, v8
	v_cmp_gt_u32_e32 vcc, s2, v8
	v_mov_b32_e32 v17, 0
	v_add_u32_e32 v20, 0x280, v8
	v_cndmask_b32_e32 v49, v0, v8, vcc
	v_mul_i32_i24_e32 v16, 3, v49
	v_lshl_add_u64 v[38:39], v[16:17], 3, s[4:5]
	s_waitcnt lgkmcnt(0)
	s_barrier
	global_load_dwordx4 v[0:3], v[38:39], off offset:720
	v_lshrrev_b16_e32 v4, 2, v20
	v_mul_u32_u24_e32 v4, 0x147b, v4
	v_lshrrev_b32_e32 v16, 17, v4
	v_mul_lo_u16_e32 v4, 0x64, v16
	v_sub_u16_e32 v54, v20, v4
	v_mul_u32_u24_e32 v4, 3, v54
	v_lshrrev_b16_e32 v58, 2, v18
	v_lshlrev_b32_e32 v57, 3, v4
	v_mul_u32_u24_e32 v58, 0x147b, v58
	global_load_dwordx4 v[4:7], v57, s[4:5] offset:720
	v_lshrrev_b32_e32 v80, 17, v58
	v_mul_lo_u16_e32 v58, 0x64, v80
	v_sub_u16_e32 v81, v18, v58
	v_mul_u32_u24_e32 v58, 3, v81
	v_lshlrev_b32_e32 v82, 3, v58
	global_load_dwordx4 v[58:61], v82, s[4:5] offset:720
	v_lshrrev_b16_e32 v62, 2, v14
	v_mul_u32_u24_e32 v62, 0x147b, v62
	v_lshrrev_b32_e32 v85, 17, v62
	v_mul_lo_u16_e32 v62, 0x64, v85
	v_sub_u16_e32 v86, v14, v62
	v_mul_u32_u24_e32 v62, 3, v86
	v_lshlrev_b32_e32 v87, 3, v62
	v_lshrrev_b16_e32 v66, 2, v15
	global_load_dwordx4 v[62:65], v87, s[4:5] offset:720
	v_mul_u32_u24_e32 v66, 0x147b, v66
	v_lshrrev_b32_e32 v88, 17, v66
	v_mul_lo_u16_e32 v66, 0x64, v88
	v_sub_u16_e32 v15, v15, v66
	v_mul_u32_u24_e32 v66, 3, v15
	v_lshlrev_b32_e32 v89, 3, v66
	global_load_dwordx4 v[66:69], v89, s[4:5] offset:720
	global_load_dwordx2 v[70:71], v[38:39], off offset:736
	global_load_dwordx2 v[72:73], v89, s[4:5] offset:736
	global_load_dwordx2 v[74:75], v87, s[4:5] offset:736
	;; [unrolled: 1-line block ×4, first 2 shown]
	ds_read_b32 v57, v45 offset:3200
	ds_read2_b32 v[38:39], v43 offset0:32 offset1:192
	ds_read_b32 v82, v48
	ds_read_b32 v87, v46
	s_movk_i32 s2, 0x63
	v_cmp_lt_u32_e32 vcc, s2, v8
	v_lshlrev_b32_e32 v15, 2, v15
	s_mov_b32 s2, 0x5040100
	s_movk_i32 s3, 0x50
	s_mov_b64 s[6:7], 0x1b30
	s_waitcnt vmcnt(9) lgkmcnt(3)
	v_mul_f32_e32 v89, v57, v1
	v_fma_f32 v89, v83, v0, -v89
	v_mul_f32_e32 v83, v83, v1
	v_fmac_f32_e32 v83, v57, v0
	s_waitcnt lgkmcnt(2)
	v_mul_f32_e32 v0, v39, v3
	v_fma_f32 v57, v37, v2, -v0
	ds_read2_b32 v[0:1], v42 offset0:32 offset1:192
	v_mul_f32_e32 v37, v37, v3
	v_fmac_f32_e32 v37, v39, v2
	s_waitcnt vmcnt(8)
	v_mul_f32_e32 v2, v38, v5
	v_fma_f32 v39, v36, v4, -v2
	v_mul_f32_e32 v36, v36, v5
	s_waitcnt lgkmcnt(0)
	v_mul_f32_e32 v2, v1, v7
	v_fmac_f32_e32 v36, v38, v4
	v_fma_f32 v4, v35, v6, -v2
	ds_read2_b32 v[2:3], v41 offset0:32 offset1:192
	v_mul_f32_e32 v35, v35, v7
	v_fmac_f32_e32 v35, v1, v6
	s_waitcnt vmcnt(7)
	v_mul_f32_e32 v1, v0, v61
	v_fma_f32 v5, v34, v60, -v1
	v_mul_f32_e32 v34, v34, v61
	v_fmac_f32_e32 v34, v0, v60
	s_waitcnt lgkmcnt(0)
	v_mul_f32_e32 v0, v3, v59
	v_fma_f32 v6, v33, v58, -v0
	ds_read2_b32 v[0:1], v40 offset0:32 offset1:192
	v_mul_f32_e32 v38, v33, v59
	v_fmac_f32_e32 v38, v3, v58
	s_waitcnt vmcnt(6)
	v_mul_f32_e32 v3, v2, v63
	v_mul_f32_e32 v58, v32, v63
	;; [unrolled: 1-line block ×3, first 2 shown]
	v_fma_f32 v7, v32, v62, -v3
	v_fmac_f32_e32 v58, v2, v62
	s_waitcnt lgkmcnt(0)
	v_mul_f32_e32 v2, v1, v65
	v_fmac_f32_e32 v60, v1, v64
	s_waitcnt vmcnt(5)
	v_mul_f32_e32 v1, v0, v69
	ds_read2st64_b32 v[32:33], v44 offset0:10 offset1:15
	v_mul_f32_e32 v62, v30, v69
	v_fma_f32 v61, v30, v68, -v1
	v_fmac_f32_e32 v62, v0, v68
	ds_read2_b32 v[0:1], v21 offset0:32 offset1:192
	v_fma_f32 v59, v31, v64, -v2
	s_waitcnt lgkmcnt(1)
	v_mul_f32_e32 v2, v33, v67
	v_fma_f32 v63, v23, v66, -v2
	v_mul_f32_e32 v64, v23, v67
	s_waitcnt vmcnt(4) lgkmcnt(0)
	v_mul_f32_e32 v2, v0, v71
	v_fma_f32 v23, v28, v70, -v2
	ds_read2_b32 v[2:3], v19 offset0:32 offset1:192
	v_mul_f32_e32 v28, v28, v71
	v_fmac_f32_e32 v28, v0, v70
	s_waitcnt vmcnt(3)
	v_mul_f32_e32 v0, v1, v73
	v_fma_f32 v0, v29, v72, -v0
	v_mul_f32_e32 v29, v29, v73
	v_fmac_f32_e32 v29, v1, v72
	s_waitcnt vmcnt(2) lgkmcnt(0)
	v_mul_f32_e32 v1, v2, v75
	v_fma_f32 v1, v26, v74, -v1
	v_mul_f32_e32 v26, v26, v75
	v_fmac_f32_e32 v26, v2, v74
	ds_read_b32 v2, v44 offset:12160
	s_waitcnt vmcnt(1)
	v_mul_f32_e32 v30, v3, v77
	v_fmac_f32_e32 v64, v33, v66
	v_fma_f32 v33, v27, v76, -v30
	v_mul_f32_e32 v27, v27, v77
	s_waitcnt vmcnt(0)
	v_mul_f32_e32 v65, v84, v79
	v_fmac_f32_e32 v27, v3, v76
	s_waitcnt lgkmcnt(0)
	v_mul_f32_e32 v3, v2, v79
	v_fmac_f32_e32 v65, v2, v78
	v_mov_b32_e32 v2, 0x640
	v_cndmask_b32_e32 v2, 0, v2, vcc
	v_lshlrev_b32_e32 v30, 2, v49
	v_add3_u32 v49, 0, v2, v30
	v_sub_f32_e32 v2, v24, v57
	v_sub_f32_e32 v23, v89, v23
	;; [unrolled: 1-line block ×3, first 2 shown]
	v_fma_f32 v30, v89, 2.0, -v23
	v_fma_f32 v24, v24, 2.0, -v2
	v_sub_f32_e32 v57, v24, v30
	v_sub_f32_e32 v66, v2, v28
	v_fma_f32 v24, v24, 2.0, -v57
	v_fma_f32 v2, v2, 2.0, -v66
	ds_read2_b32 v[30:31], v44 offset1:160
	s_waitcnt lgkmcnt(0)
	s_barrier
	ds_write2_b32 v49, v24, v2 offset1:100
	v_add_u32_e32 v67, 0x200, v49
	v_sub_f32_e32 v2, v25, v61
	ds_write2_b32 v67, v57, v66 offset0:72 offset1:172
	v_fma_f32 v24, v25, 2.0, -v2
	v_mul_u32_u24_e32 v25, 0x640, v88
	v_sub_f32_e32 v57, v63, v0
	v_add3_u32 v15, 0, v25, v15
	v_sub_f32_e32 v61, v64, v29
	v_fma_f32 v0, v63, 2.0, -v57
	v_sub_f32_e32 v0, v24, v0
	v_sub_f32_e32 v25, v2, v61
	v_add_u32_e32 v63, 0x200, v15
	v_fma_f32 v24, v24, 2.0, -v0
	ds_write2_b32 v63, v0, v25 offset0:72 offset1:172
	v_perm_b32 v0, v80, v85, s2
	s_movk_i32 s2, 0x640
	v_fma_f32 v2, v2, 2.0, -v25
	v_pk_mul_lo_u16 v0, v0, s2 op_sel_hi:[1,0]
	ds_write2_b32 v15, v24, v2 offset1:100
	v_lshlrev_b32_e32 v2, 2, v86
	v_and_b32_e32 v24, 0xffc0, v0
	v_add3_u32 v66, 0, v24, v2
	v_sub_f32_e32 v2, v56, v59
	v_fma_f32 v24, v56, 2.0, -v2
	v_sub_f32_e32 v56, v7, v1
	v_fma_f32 v1, v7, 2.0, -v56
	v_sub_f32_e32 v59, v58, v26
	v_sub_f32_e32 v1, v24, v1
	v_fma_f32 v7, v24, 2.0, -v1
	v_sub_f32_e32 v24, v2, v59
	v_add_u32_e32 v68, 0x200, v66
	ds_write2_b32 v68, v1, v24 offset0:72 offset1:172
	v_lshrrev_b32_e32 v0, 16, v0
	v_lshlrev_b32_e32 v1, 2, v81
	v_fma_f32 v2, v2, 2.0, -v24
	v_add3_u32 v69, 0, v0, v1
	v_sub_f32_e32 v0, v55, v5
	v_sub_f32_e32 v33, v6, v33
	ds_write2_b32 v66, v7, v2 offset1:100
	v_fma_f32 v1, v55, 2.0, -v0
	v_sub_f32_e32 v55, v38, v27
	v_fma_f32 v2, v6, 2.0, -v33
	v_sub_f32_e32 v2, v1, v2
	v_sub_f32_e32 v5, v0, v55
	v_fma_f32 v3, v84, v78, -v3
	v_fma_f32 v1, v1, 2.0, -v2
	v_fma_f32 v0, v0, 2.0, -v5
	v_add_u32_e32 v70, 0x200, v69
	ds_write2_b32 v69, v1, v0 offset1:100
	ds_write2_b32 v70, v2, v5 offset0:72 offset1:172
	v_sub_f32_e32 v0, v22, v4
	v_mul_u32_u24_e32 v2, 0x640, v16
	v_lshlrev_b32_e32 v4, 2, v54
	v_sub_f32_e32 v54, v39, v3
	v_fma_f32 v1, v22, 2.0, -v0
	v_add3_u32 v16, 0, v2, v4
	v_sub_f32_e32 v65, v36, v65
	v_fma_f32 v2, v39, 2.0, -v54
	v_sub_f32_e32 v2, v1, v2
	v_sub_f32_e32 v3, v0, v65
	v_fma_f32 v1, v1, 2.0, -v2
	v_fma_f32 v0, v0, 2.0, -v3
	ds_write2_b32 v16, v1, v0 offset1:100
	v_add_u32_e32 v39, 0x200, v16
	v_sub_f32_e32 v1, v30, v37
	ds_write2_b32 v39, v2, v3 offset0:72 offset1:172
	v_fma_f32 v0, v83, 2.0, -v28
	v_fma_f32 v2, v30, 2.0, -v1
	v_sub_f32_e32 v30, v2, v0
	v_add_f32_e32 v71, v1, v23
	v_fma_f32 v37, v2, 2.0, -v30
	v_fma_f32 v72, v1, 2.0, -v71
	s_waitcnt lgkmcnt(0)
	s_barrier
	ds_read_b32 v78, v48
	ds_read_b32 v79, v45 offset:3200
	ds_read_b32 v80, v46
	ds_read_b32 v81, v44 offset:12160
	ds_read2_b32 v[2:3], v44 offset1:160
	ds_read2_b32 v[28:29], v43 offset0:32 offset1:192
	ds_read2_b32 v[6:7], v21 offset0:32 offset1:192
	ds_read2st64_b32 v[0:1], v44 offset0:10 offset1:15
	ds_read2_b32 v[22:23], v40 offset0:32 offset1:192
	ds_read2_b32 v[24:25], v41 offset0:32 offset1:192
	;; [unrolled: 1-line block ×4, first 2 shown]
	s_waitcnt lgkmcnt(0)
	s_barrier
	ds_write2_b32 v49, v37, v72 offset1:100
	ds_write2_b32 v67, v30, v71 offset0:72 offset1:172
	v_sub_f32_e32 v30, v31, v62
	v_fma_f32 v31, v31, 2.0, -v30
	v_fma_f32 v37, v64, 2.0, -v61
	v_sub_f32_e32 v37, v31, v37
	v_add_f32_e32 v49, v30, v57
	v_fma_f32 v31, v31, 2.0, -v37
	v_fma_f32 v30, v30, 2.0, -v49
	ds_write2_b32 v15, v31, v30 offset1:100
	ds_write2_b32 v63, v37, v49 offset0:72 offset1:172
	v_sub_f32_e32 v30, v87, v60
	v_fma_f32 v15, v58, 2.0, -v59
	v_fma_f32 v31, v87, 2.0, -v30
	v_sub_f32_e32 v15, v31, v15
	v_add_f32_e32 v37, v30, v56
	v_fma_f32 v31, v31, 2.0, -v15
	v_fma_f32 v30, v30, 2.0, -v37
	;; [unrolled: 9-line block ×3, first 2 shown]
	ds_write2_b32 v69, v31, v30 offset1:100
	v_sub_f32_e32 v30, v32, v35
	v_fma_f32 v31, v32, 2.0, -v30
	v_fma_f32 v32, v36, 2.0, -v65
	v_sub_f32_e32 v32, v31, v32
	v_add_f32_e32 v34, v30, v54
	v_fma_f32 v31, v31, 2.0, -v32
	v_fma_f32 v30, v30, 2.0, -v34
	ds_write2_b32 v70, v15, v33 offset0:72 offset1:172
	ds_write2_b32 v16, v31, v30 offset1:100
	ds_write2_b32 v39, v32, v34 offset0:72 offset1:172
	v_mul_u32_u24_e32 v15, 3, v8
	v_lshlrev_b32_e32 v16, 3, v15
	s_waitcnt lgkmcnt(0)
	s_barrier
	global_load_dwordx4 v[30:33], v16, s[4:5] offset:3120
	v_add_u32_e32 v15, 0x1680, v16
	global_load_dwordx4 v[34:37], v15, s[4:5] offset:3120
	v_add_u32_e32 v49, 0x780, v16
	global_load_dwordx4 v[54:57], v49, s[4:5] offset:3120
	v_add_u32_e32 v38, 0xffffffb0, v8
	v_cmp_gt_u32_e32 vcc, s3, v8
	v_mov_b32_e32 v39, v17
	s_movk_i32 s3, 0x1000
	v_cndmask_b32_e32 v82, v38, v14, vcc
	v_mul_i32_i24_e32 v38, 3, v82
	v_lshl_add_u64 v[38:39], v[38:39], 3, s[4:5]
	global_load_dwordx4 v[58:61], v[38:39], off offset:3120
	v_lshl_add_u64 v[66:67], s[4:5], 0, v[16:17]
	v_add_co_u32_e32 v68, vcc, s3, v66
	s_nop 1
	v_addc_co_u32_e32 v69, vcc, 0, v67, vcc
	global_load_dwordx4 v[62:65], v[68:69], off offset:2864
	global_load_dwordx2 v[70:71], v16, s[4:5] offset:3136
	v_lshl_add_u64 v[66:67], v[66:67], 0, s[6:7]
	global_load_dwordx2 v[68:69], v[66:67], off offset:16
	global_load_dwordx2 v[72:73], v[38:39], off offset:3136
	global_load_dwordx2 v[74:75], v49, s[4:5] offset:3136
	global_load_dwordx2 v[76:77], v15, s[4:5] offset:3136
	ds_read_b32 v15, v45 offset:3200
	ds_read2_b32 v[38:39], v43 offset0:32 offset1:192
	ds_read_b32 v16, v48
	ds_read_b32 v43, v46
	s_movk_i32 s6, 0x4f
	v_cmp_lt_u32_e32 vcc, s6, v8
	s_movk_i32 s6, 0x2000
	s_waitcnt vmcnt(9) lgkmcnt(3)
	v_mul_f32_e32 v49, v15, v31
	v_mul_f32_e32 v66, v79, v31
	v_fma_f32 v49, v79, v30, -v49
	v_fmac_f32_e32 v66, v15, v30
	ds_read2_b32 v[30:31], v42 offset0:32 offset1:192
	s_waitcnt lgkmcnt(3)
	v_mul_f32_e32 v15, v39, v33
	v_fma_f32 v15, v29, v32, -v15
	v_mul_f32_e32 v33, v29, v33
	s_waitcnt vmcnt(8)
	v_mul_f32_e32 v29, v38, v35
	v_fmac_f32_e32 v33, v39, v32
	v_fma_f32 v32, v28, v34, -v29
	v_mul_f32_e32 v42, v28, v35
	s_waitcnt lgkmcnt(0)
	v_mul_f32_e32 v28, v31, v37
	v_fmac_f32_e32 v42, v38, v34
	v_fma_f32 v34, v27, v36, -v28
	ds_read2_b32 v[28:29], v41 offset0:32 offset1:192
	v_mul_f32_e32 v67, v27, v37
	s_waitcnt vmcnt(7)
	v_mul_f32_e32 v27, v30, v57
	v_fmac_f32_e32 v67, v31, v36
	v_fma_f32 v31, v26, v56, -v27
	v_mul_f32_e32 v57, v26, v57
	s_waitcnt lgkmcnt(0)
	v_mul_f32_e32 v26, v29, v55
	v_fmac_f32_e32 v57, v30, v56
	v_fma_f32 v30, v25, v54, -v26
	ds_read2_b32 v[26:27], v40 offset0:32 offset1:192
	v_mul_f32_e32 v55, v25, v55
	s_waitcnt vmcnt(6)
	v_mul_f32_e32 v25, v28, v59
	v_fmac_f32_e32 v55, v29, v54
	v_fma_f32 v29, v24, v58, -v25
	v_mul_f32_e32 v54, v24, v59
	s_waitcnt lgkmcnt(0)
	v_mul_f32_e32 v24, v27, v61
	v_fmac_f32_e32 v54, v28, v58
	v_fma_f32 v28, v23, v60, -v24
	v_mul_f32_e32 v56, v23, v61
	s_waitcnt vmcnt(5)
	v_mul_f32_e32 v23, v26, v65
	v_fmac_f32_e32 v56, v27, v60
	ds_read2st64_b32 v[38:39], v44 offset0:10 offset1:15
	v_fma_f32 v27, v22, v64, -v23
	v_mul_f32_e32 v35, v22, v65
	ds_read2_b32 v[22:23], v21 offset0:32 offset1:192
	ds_read2_b32 v[24:25], v19 offset0:32 offset1:192
	s_waitcnt lgkmcnt(2)
	v_mul_f32_e32 v21, v39, v63
	v_fma_f32 v21, v1, v62, -v21
	v_mul_f32_e32 v58, v1, v63
	s_waitcnt vmcnt(3) lgkmcnt(1)
	v_mul_f32_e32 v19, v23, v69
	v_mul_f32_e32 v1, v22, v71
	v_fma_f32 v19, v7, v68, -v19
	v_mul_f32_e32 v7, v7, v69
	v_fma_f32 v1, v6, v70, -v1
	v_mul_f32_e32 v6, v6, v71
	v_fmac_f32_e32 v7, v23, v68
	ds_read_b32 v23, v44 offset:12160
	v_fmac_f32_e32 v6, v22, v70
	s_waitcnt vmcnt(2) lgkmcnt(1)
	v_mul_f32_e32 v22, v24, v73
	v_fma_f32 v22, v4, v72, -v22
	v_mul_f32_e32 v4, v4, v73
	v_fmac_f32_e32 v4, v24, v72
	s_waitcnt vmcnt(1)
	v_mul_f32_e32 v24, v25, v75
	v_fmac_f32_e32 v35, v26, v64
	v_fma_f32 v24, v5, v74, -v24
	v_mul_f32_e32 v5, v5, v75
	s_waitcnt vmcnt(0)
	v_mul_f32_e32 v26, v81, v77
	v_fmac_f32_e32 v5, v25, v74
	s_waitcnt lgkmcnt(0)
	v_mul_f32_e32 v25, v23, v77
	v_fmac_f32_e32 v26, v23, v76
	v_sub_f32_e32 v15, v2, v15
	v_sub_f32_e32 v23, v3, v27
	;; [unrolled: 1-line block ×4, first 2 shown]
	v_fma_f32 v2, v2, 2.0, -v15
	v_fma_f32 v3, v3, 2.0, -v23
	;; [unrolled: 1-line block ×4, first 2 shown]
	v_sub_f32_e32 v27, v2, v27
	v_sub_f32_e32 v21, v3, v21
	v_fmac_f32_e32 v58, v39, v62
	v_fma_f32 v2, v2, 2.0, -v27
	v_fma_f32 v3, v3, 2.0, -v21
	v_sub_f32_e32 v39, v66, v6
	ds_read2_b32 v[40:41], v44 offset1:160
	s_waitcnt lgkmcnt(0)
	s_barrier
	ds_write2_b32 v44, v2, v3 offset1:160
	v_sub_f32_e32 v2, v15, v39
	v_fma_f32 v3, v15, 2.0, -v2
	v_sub_f32_e32 v15, v58, v7
	v_sub_f32_e32 v6, v23, v15
	v_fma_f32 v7, v23, 2.0, -v6
	v_add_u32_e32 v49, 0x600, v44
	ds_write2_b32 v49, v3, v7 offset0:16 offset1:176
	ds_write2_b32 v9, v27, v21 offset0:32 offset1:192
	v_add_u32_e32 v21, 0x1200, v44
	v_mov_b32_e32 v3, 0x1900
	ds_write2_b32 v21, v2, v6 offset0:48 offset1:208
	v_cndmask_b32_e32 v3, 0, v3, vcc
	v_lshlrev_b32_e32 v6, 2, v82
	v_add3_u32 v59, 0, v3, v6
	v_sub_f32_e32 v3, v80, v28
	v_sub_f32_e32 v60, v29, v22
	v_fma_f32 v6, v80, 2.0, -v3
	v_fma_f32 v7, v29, 2.0, -v60
	v_sub_f32_e32 v29, v54, v4
	v_fma_f32 v25, v81, v76, -v25
	v_sub_f32_e32 v7, v6, v7
	v_sub_f32_e32 v4, v3, v29
	;; [unrolled: 1-line block ×4, first 2 shown]
	v_fma_f32 v6, v6, 2.0, -v7
	v_fma_f32 v3, v3, 2.0, -v4
	v_add_f32_e32 v61, v33, v1
	v_sub_f32_e32 v1, v78, v31
	v_sub_f32_e32 v63, v30, v24
	v_sub_f32_e32 v64, v32, v25
	v_fma_f32 v0, v0, 2.0, -v2
	ds_write_b32 v59, v6
	ds_write_b32 v59, v3 offset:1600
	v_fma_f32 v3, v78, 2.0, -v1
	v_fma_f32 v6, v30, 2.0, -v63
	;; [unrolled: 1-line block ×3, first 2 shown]
	v_sub_f32_e32 v6, v3, v6
	v_sub_f32_e32 v22, v0, v22
	;; [unrolled: 1-line block ×3, first 2 shown]
	v_fma_f32 v3, v3, 2.0, -v6
	v_sub_f32_e32 v65, v42, v26
	v_fma_f32 v0, v0, 2.0, -v22
	v_add_u32_e32 v68, 0x1a00, v45
	ds_write_b32 v59, v7 offset:3200
	v_sub_f32_e32 v7, v1, v5
	ds_write_b32 v59, v4 offset:4800
	ds_write2_b32 v68, v3, v0 offset0:16 offset1:176
	v_sub_f32_e32 v0, v2, v65
	v_fma_f32 v1, v1, 2.0, -v7
	v_fma_f32 v2, v2, 2.0, -v0
	v_add_u32_e32 v69, 0x2000, v45
	ds_write2_b32 v69, v1, v2 offset0:32 offset1:192
	v_add_u32_e32 v70, 0x2600, v45
	v_add_u32_e32 v71, 0x2c00, v45
	;; [unrolled: 1-line block ×3, first 2 shown]
	v_sub_f32_e32 v62, v41, v35
	ds_write2_b32 v70, v6, v22 offset0:48 offset1:208
	ds_write2_b32 v71, v7, v0 offset0:64 offset1:224
	s_waitcnt lgkmcnt(0)
	s_barrier
	ds_read2_b32 v[36:37], v44 offset1:160
	ds_read2_b32 v[34:35], v50 offset0:64 offset1:224
	ds_read2st64_b32 v[24:25], v44 offset0:10 offset1:15
	ds_read2st64_b32 v[6:7], v1 offset0:12 offset1:17
	ds_read2_b32 v[30:31], v51 offset1:160
	ds_read2_b32 v[26:27], v52 offset0:64 offset1:224
	ds_read2_b32 v[22:23], v53 offset1:160
	ds_read_b32 v32, v46
	ds_read_b32 v4, v47
	ds_read2_b32 v[2:3], v13 offset0:64 offset1:224
	ds_read_b32 v28, v48
	ds_read_b32 v0, v45 offset:5760
	v_add_f32_e32 v19, v62, v19
	v_fma_f32 v72, v33, 2.0, -v61
	v_fma_f32 v73, v62, 2.0, -v19
	s_waitcnt lgkmcnt(0)
	s_barrier
	ds_write2_b32 v49, v72, v73 offset0:16 offset1:176
	ds_write2_b32 v21, v61, v19 offset0:48 offset1:208
	v_fma_f32 v19, v40, 2.0, -v33
	v_fma_f32 v21, v41, 2.0, -v62
	;; [unrolled: 1-line block ×4, first 2 shown]
	v_sub_f32_e32 v33, v19, v33
	v_sub_f32_e32 v15, v21, v15
	ds_write2_b32 v9, v33, v15 offset0:32 offset1:192
	v_fma_f32 v15, v21, 2.0, -v15
	v_sub_f32_e32 v21, v38, v67
	v_fma_f32 v9, v19, 2.0, -v33
	v_fma_f32 v19, v54, 2.0, -v29
	;; [unrolled: 1-line block ×3, first 2 shown]
	v_sub_f32_e32 v38, v43, v56
	v_sub_f32_e32 v41, v16, v57
	v_fma_f32 v5, v55, 2.0, -v5
	v_fma_f32 v33, v42, 2.0, -v65
	;; [unrolled: 1-line block ×4, first 2 shown]
	v_sub_f32_e32 v19, v39, v19
	v_add_f32_e32 v40, v38, v60
	v_sub_f32_e32 v5, v16, v5
	v_add_f32_e32 v42, v41, v63
	;; [unrolled: 2-line block ×3, first 2 shown]
	v_fma_f32 v39, v39, 2.0, -v19
	v_fma_f32 v38, v38, 2.0, -v40
	;; [unrolled: 1-line block ×6, first 2 shown]
	ds_write2_b32 v44, v9, v15 offset1:160
	ds_write_b32 v59, v39
	ds_write_b32 v59, v38 offset:1600
	ds_write_b32 v59, v19 offset:3200
	;; [unrolled: 1-line block ×3, first 2 shown]
	ds_write2_b32 v68, v16, v29 offset0:16 offset1:176
	ds_write2_b32 v69, v41, v21 offset0:32 offset1:192
	ds_write2_b32 v70, v5, v33 offset0:48 offset1:208
	ds_write2_b32 v71, v42, v43 offset0:64 offset1:224
	s_waitcnt lgkmcnt(0)
	s_barrier
	s_and_saveexec_b64 s[8:9], s[0:1]
	s_cbranch_execz .LBB0_15
; %bb.14:
	v_mov_b32_e32 v9, v17
	v_lshlrev_b64 v[54:55], 3, v[8:9]
	v_lshl_add_u64 v[38:39], s[4:5], 0, v[54:55]
	s_movk_i32 s0, 0x3000
	v_mov_b32_e32 v15, v17
	v_add_co_u32_e32 v38, vcc, s0, v38
	v_lshl_add_u64 v[14:15], v[14:15], 3, s[4:5]
	s_nop 0
	v_addc_co_u32_e32 v39, vcc, 0, v39, vcc
	v_add_co_u32_e32 v14, vcc, s0, v14
	v_mov_b32_e32 v19, v17
	s_nop 0
	v_addc_co_u32_e32 v15, vcc, 0, v15, vcc
	global_load_dwordx2 v[56:57], v[38:39], off offset:432
	global_load_dwordx2 v[58:59], v[38:39], off offset:1712
	;; [unrolled: 1-line block ×3, first 2 shown]
	v_lshl_add_u64 v[14:15], v[18:19], 3, s[4:5]
	v_add_co_u32_e32 v14, vcc, s0, v14
	v_mov_b32_e32 v21, v17
	s_nop 0
	v_addc_co_u32_e32 v15, vcc, 0, v15, vcc
	global_load_dwordx2 v[62:63], v[14:15], off offset:432
	v_lshl_add_u64 v[20:21], v[20:21], 3, s[4:5]
	v_add_co_u32_e32 v20, vcc, s0, v20
	ds_read2_b32 v[14:15], v13 offset0:64 offset1:224
	s_nop 0
	v_addc_co_u32_e32 v21, vcc, 0, v21, vcc
	ds_read2st64_b32 v[18:19], v1 offset0:12 offset1:17
	ds_read2_b32 v[40:41], v53 offset1:160
	ds_read2st64_b32 v[42:43], v44 offset0:10 offset1:15
	global_load_dwordx2 v[20:21], v[20:21], off offset:432
	ds_read2_b32 v[52:53], v52 offset0:64 offset1:224
	ds_read_b32 v29, v48
	ds_read2_b32 v[48:49], v51 offset1:160
	ds_read_b32 v1, v45 offset:5760
	ds_read_b32 v5, v47
	ds_read_b32 v33, v46
	ds_read2_b32 v[44:45], v44 offset1:160
	ds_read2_b32 v[46:47], v50 offset0:64 offset1:224
	v_add_u32_e32 v64, 0x320, v8
	v_mov_b32_e32 v65, v17
	v_lshl_add_u64 v[74:75], v[64:65], 3, s[4:5]
	v_add_co_u32_e32 v74, vcc, s0, v74
	s_waitcnt lgkmcnt(0)
	v_mov_b32_e32 v78, v47
	v_addc_co_u32_e32 v75, vcc, 0, v75, vcc
	v_mov_b32_e32 v50, v36
	v_mov_b32_e32 v36, v35
	;; [unrolled: 1-line block ×3, first 2 shown]
	global_load_dwordx2 v[74:75], v[74:75], off offset:432
	v_lshl_add_u64 v[54:55], v[10:11], 0, v[54:55]
	v_mov_b32_e32 v51, v44
	v_mov_b32_e32 v44, v37
	v_add_u32_e32 v38, 0x3c0, v8
	v_mov_b32_e32 v39, v17
	v_add_co_u32_e32 v76, vcc, s0, v54
	v_lshl_add_u64 v[72:73], v[38:39], 3, s[4:5]
	s_nop 0
	v_addc_co_u32_e32 v77, vcc, 0, v55, vcc
	v_add_u32_e32 v66, 0x460, v8
	v_mov_b32_e32 v67, v17
	v_lshl_add_u64 v[66:67], v[66:67], 3, s[4:5]
	s_movk_i32 s1, 0x4000
	v_mov_b32_e32 v13, v17
	v_lshl_add_u64 v[12:13], v[12:13], 3, s[4:5]
	v_add_u32_e32 v16, 0x5a0, v8
	v_lshl_add_u64 v[70:71], v[16:17], 3, s[4:5]
	s_waitcnt vmcnt(5)
	v_pk_mul_f32 v[46:47], v[56:57], v[46:47] op_sel_hi:[1,0]
	s_waitcnt vmcnt(4)
	v_pk_mul_f32 v[78:79], v[58:59], v[78:79] op_sel_hi:[1,0]
	v_pk_fma_f32 v[82:83], v[34:35], v[56:57], v[46:47] op_sel:[0,0,1] op_sel_hi:[1,1,0] neg_lo:[0,0,1] neg_hi:[0,0,1]
	v_pk_fma_f32 v[34:35], v[34:35], v[56:57], v[46:47] op_sel:[0,0,1] op_sel_hi:[0,1,0]
	v_pk_fma_f32 v[36:37], v[36:37], v[58:59], v[78:79] op_sel:[0,0,1] op_sel_hi:[1,1,0] neg_lo:[0,0,1] neg_hi:[0,0,1]
	v_pk_fma_f32 v[46:47], v[68:69], v[58:59], v[78:79] op_sel:[0,0,1] op_sel_hi:[0,1,0]
	v_mov_b32_e32 v83, v35
	v_mov_b32_e32 v37, v47
	v_pk_add_f32 v[34:35], v[50:51], v[82:83] neg_lo:[0,1] neg_hi:[0,1]
	v_pk_add_f32 v[36:37], v[44:45], v[36:37] neg_lo:[0,1] neg_hi:[0,1]
	v_pk_fma_f32 v[46:47], v[50:51], 2.0, v[34:35] op_sel_hi:[1,0,1] neg_lo:[0,0,1] neg_hi:[0,0,1]
	global_store_dwordx2 v[76:77], v[34:35], off offset:512
	v_pk_fma_f32 v[34:35], v[44:45], 2.0, v[36:37] op_sel_hi:[1,0,1] neg_lo:[0,0,1] neg_hi:[0,0,1]
	global_store_dwordx2 v[76:77], v[36:37], off offset:1792
	global_store_dwordx2 v[54:55], v[46:47], off
	global_store_dwordx2 v[54:55], v[34:35], off offset:1280
	v_add_co_u32_e32 v36, vcc, s0, v72
	s_waitcnt vmcnt(7)
	v_pk_mul_f32 v[80:81], v[60:61], v[48:49] op_sel_hi:[1,0]
	v_addc_co_u32_e32 v37, vcc, 0, v73, vcc
	v_pk_fma_f32 v[56:57], v[30:31], v[60:61], v[80:81] op_sel:[0,0,1] op_sel_hi:[1,1,0] neg_lo:[0,0,1] neg_hi:[0,0,1]
	v_pk_fma_f32 v[34:35], v[30:31], v[60:61], v[80:81] op_sel:[0,0,1] op_sel_hi:[0,1,0]
	global_load_dwordx2 v[36:37], v[36:37], off offset:432
	v_mov_b32_e32 v57, v35
	v_pk_add_f32 v[34:35], v[32:33], v[56:57] neg_lo:[0,1] neg_hi:[0,1]
	v_mov_b32_e32 v30, v31
	v_pk_fma_f32 v[32:33], v[32:33], 2.0, v[34:35] op_sel_hi:[1,0,1] neg_lo:[0,0,1] neg_hi:[0,0,1]
	global_store_dwordx2 v[54:55], v[32:33], off offset:2560
	global_store_dwordx2 v[76:77], v[34:35], off offset:3072
	v_mov_b32_e32 v34, v49
	v_mov_b32_e32 v32, v31
	s_waitcnt vmcnt(9)
	v_pk_mul_f32 v[34:35], v[62:63], v[34:35] op_sel_hi:[1,0]
	s_nop 0
	v_pk_fma_f32 v[30:31], v[30:31], v[62:63], v[34:35] op_sel:[0,0,1] op_sel_hi:[1,1,0] neg_lo:[0,0,1] neg_hi:[0,0,1]
	v_pk_fma_f32 v[32:33], v[32:33], v[62:63], v[34:35] op_sel:[0,0,1] op_sel_hi:[0,1,0]
	v_add_co_u32_e32 v34, vcc, s0, v66
	v_mov_b32_e32 v31, v33
	s_nop 0
	v_addc_co_u32_e32 v35, vcc, 0, v67, vcc
	global_load_dwordx2 v[34:35], v[34:35], off offset:432
	v_pk_add_f32 v[30:31], v[28:29], v[30:31] neg_lo:[0,1] neg_hi:[0,1]
	s_waitcnt vmcnt(9)
	v_pk_mul_f32 v[32:33], v[20:21], v[52:53] op_sel_hi:[1,0]
	v_pk_fma_f32 v[28:29], v[28:29], 2.0, v[30:31] op_sel_hi:[1,0,1] neg_lo:[0,0,1] neg_hi:[0,0,1]
	global_store_dwordx2 v[54:55], v[28:29], off offset:3840
	v_add_co_u32_e32 v28, vcc, s1, v54
	v_pk_fma_f32 v[44:45], v[26:27], v[20:21], v[32:33] op_sel:[0,0,1] op_sel_hi:[1,1,0] neg_lo:[0,0,1] neg_hi:[0,0,1]
	s_nop 0
	v_addc_co_u32_e32 v29, vcc, 0, v55, vcc
	v_add_co_u32_e32 v12, vcc, s0, v12
	v_pk_fma_f32 v[20:21], v[26:27], v[20:21], v[32:33] op_sel:[0,0,1] op_sel_hi:[0,1,0]
	s_nop 0
	v_addc_co_u32_e32 v13, vcc, 0, v13, vcc
	global_load_dwordx2 v[12:13], v[12:13], off offset:432
	v_mov_b32_e32 v45, v21
	global_store_dwordx2 v[28:29], v[30:31], off offset:256
	v_mov_b32_e32 v30, v24
	v_mov_b32_e32 v31, v42
	v_pk_add_f32 v[20:21], v[30:31], v[44:45] neg_lo:[0,1] neg_hi:[0,1]
	v_add_co_u32_e32 v32, vcc, s3, v54
	v_pk_fma_f32 v[30:31], v[30:31], 2.0, v[20:21] op_sel_hi:[1,0,1] neg_lo:[0,0,1] neg_hi:[0,0,1]
	s_nop 0
	v_addc_co_u32_e32 v33, vcc, 0, v55, vcc
	global_store_dwordx2 v[32:33], v[30:31], off offset:1024
	global_store_dwordx2 v[28:29], v[20:21], off offset:1536
	v_add_co_u32_e32 v20, vcc, s0, v70
	v_mov_b32_e32 v24, v53
	s_nop 0
	v_addc_co_u32_e32 v21, vcc, 0, v71, vcc
	global_load_dwordx2 v[20:21], v[20:21], off offset:432
	s_mov_b32 s1, 0x51eb851f
	v_mov_b32_e32 v30, v6
	v_mov_b32_e32 v31, v18
	v_mov_b32_e32 v6, v27
	v_mov_b32_e32 v18, v27
	s_waitcnt vmcnt(14)
	v_pk_mul_f32 v[26:27], v[74:75], v[24:25] op_sel_hi:[1,0]
	v_mul_hi_u32 v9, v64, s1
	v_pk_fma_f32 v[32:33], v[6:7], v[74:75], v[26:27] op_sel:[0,0,1] op_sel_hi:[1,1,0] neg_lo:[0,0,1] neg_hi:[0,0,1]
	v_pk_fma_f32 v[26:27], v[18:19], v[74:75], v[26:27] op_sel:[0,0,1] op_sel_hi:[0,1,0]
	v_lshrrev_b32_e32 v9, 9, v9
	v_mov_b32_e32 v33, v27
	v_mad_u32_u24 v28, v9, s2, v64
	v_mov_b32_e32 v29, v17
	v_pk_add_f32 v[26:27], v[30:31], v[32:33] neg_lo:[0,1] neg_hi:[0,1]
	v_lshl_add_u64 v[28:29], v[28:29], 3, v[10:11]
	v_pk_fma_f32 v[30:31], v[30:31], 2.0, v[26:27] op_sel_hi:[1,0,1] neg_lo:[0,0,1] neg_hi:[0,0,1]
	global_store_dwordx2 v[28:29], v[30:31], off
	v_add_co_u32_e32 v28, vcc, s0, v28
	v_mov_b32_e32 v42, v25
	s_nop 0
	v_addc_co_u32_e32 v29, vcc, 0, v29, vcc
	global_store_dwordx2 v[28:29], v[26:27], off offset:512
	v_mul_hi_u32 v6, v38, s1
	v_lshrrev_b32_e32 v6, 9, v6
	v_mad_u32_u24 v26, v6, s2, v38
	v_mov_b32_e32 v27, v17
	v_lshl_add_u64 v[26:27], v[26:27], 3, v[10:11]
	v_mov_b32_e32 v6, v23
	v_mov_b32_e32 v18, v7
	s_waitcnt vmcnt(11)
	v_pk_mul_f32 v[24:25], v[36:37], v[40:41] op_sel_hi:[1,0]
	s_nop 0
	v_pk_fma_f32 v[28:29], v[22:23], v[36:37], v[24:25] op_sel:[0,0,1] op_sel_hi:[1,1,0] neg_lo:[0,0,1] neg_hi:[0,0,1]
	v_pk_fma_f32 v[24:25], v[22:23], v[36:37], v[24:25] op_sel:[0,0,1] op_sel_hi:[0,1,0]
	v_mov_b32_e32 v29, v25
	v_pk_add_f32 v[24:25], v[42:43], v[28:29] neg_lo:[0,1] neg_hi:[0,1]
	v_mov_b32_e32 v22, v23
	v_pk_fma_f32 v[28:29], v[42:43], 2.0, v[24:25] op_sel_hi:[1,0,1] neg_lo:[0,0,1] neg_hi:[0,0,1]
	global_store_dwordx2 v[26:27], v[28:29], off
	v_add_co_u32_e32 v26, vcc, s0, v26
	s_movk_i32 s0, 0x5000
	s_nop 0
	v_addc_co_u32_e32 v27, vcc, 0, v27, vcc
	global_store_dwordx2 v[26:27], v[24:25], off offset:512
	v_mov_b32_e32 v24, v41
	s_waitcnt vmcnt(10)
	v_pk_mul_f32 v[24:25], v[34:35], v[24:25] op_sel_hi:[1,0]
	s_nop 0
	v_pk_fma_f32 v[6:7], v[6:7], v[34:35], v[24:25] op_sel:[0,0,1] op_sel_hi:[1,1,0] neg_lo:[0,0,1] neg_hi:[0,0,1]
	v_pk_fma_f32 v[22:23], v[22:23], v[34:35], v[24:25] op_sel:[0,0,1] op_sel_hi:[0,1,0]
	v_mov_b32_e32 v7, v23
	v_pk_add_f32 v[6:7], v[18:19], v[6:7] neg_lo:[0,1] neg_hi:[0,1]
	v_add_co_u32_e32 v22, vcc, s6, v54
	v_pk_fma_f32 v[18:19], v[18:19], 2.0, v[6:7] op_sel_hi:[1,0,1] neg_lo:[0,0,1] neg_hi:[0,0,1]
	s_nop 0
	v_addc_co_u32_e32 v23, vcc, 0, v55, vcc
	global_store_dwordx2 v[22:23], v[18:19], off offset:768
	v_add_co_u32_e32 v18, vcc, s0, v54
	s_nop 1
	v_addc_co_u32_e32 v19, vcc, 0, v55, vcc
	global_store_dwordx2 v[18:19], v[6:7], off offset:1280
	v_or_b32_e32 v6, 0x500, v8
	s_waitcnt vmcnt(10)
	v_pk_mul_f32 v[8:9], v[12:13], v[14:15] op_sel_hi:[1,0]
	v_mov_b32_e32 v7, v17
	v_pk_fma_f32 v[22:23], v[2:3], v[12:13], v[8:9] op_sel:[0,0,1] op_sel_hi:[1,1,0] neg_lo:[0,0,1] neg_hi:[0,0,1]
	v_pk_fma_f32 v[8:9], v[2:3], v[12:13], v[8:9] op_sel:[0,0,1] op_sel_hi:[0,1,0]
	v_mov_b32_e32 v23, v9
	v_pk_add_f32 v[8:9], v[4:5], v[22:23] neg_lo:[0,1] neg_hi:[0,1]
	v_lshl_add_u64 v[6:7], v[6:7], 3, v[10:11]
	v_pk_fma_f32 v[4:5], v[4:5], 2.0, v[8:9] op_sel_hi:[1,0,1] neg_lo:[0,0,1] neg_hi:[0,0,1]
	v_mul_hi_u32 v2, v16, s1
	global_store_dwordx2 v[6:7], v[4:5], off
	global_store_dwordx2 v[18:19], v[8:9], off offset:2560
	v_lshrrev_b32_e32 v2, 9, v2
	v_mov_b32_e32 v8, v15
	v_mad_u32_u24 v16, v2, s2, v16
	v_mov_b32_e32 v2, v3
	v_mov_b32_e32 v6, v3
	s_waitcnt vmcnt(8)
	v_pk_mul_f32 v[8:9], v[20:21], v[8:9] op_sel_hi:[1,0]
	v_lshl_add_u64 v[4:5], v[16:17], 3, v[10:11]
	v_pk_fma_f32 v[2:3], v[2:3], v[20:21], v[8:9] op_sel:[0,0,1] op_sel_hi:[1,1,0] neg_lo:[0,0,1] neg_hi:[0,0,1]
	v_pk_fma_f32 v[6:7], v[6:7], v[20:21], v[8:9] op_sel:[0,0,1] op_sel_hi:[0,1,0]
	v_mov_b32_e32 v3, v7
	v_pk_add_f32 v[2:3], v[0:1], v[2:3] neg_lo:[0,1] neg_hi:[0,1]
	s_nop 0
	v_pk_fma_f32 v[0:1], v[0:1], 2.0, v[2:3] op_sel_hi:[1,0,1] neg_lo:[0,0,1] neg_hi:[0,0,1]
	global_store_dwordx2 v[4:5], v[0:1], off
	v_add_co_u32_e32 v0, vcc, 0x3000, v4
	s_nop 1
	v_addc_co_u32_e32 v1, vcc, 0, v5, vcc
	global_store_dwordx2 v[0:1], v[2:3], off offset:512
.LBB0_15:
	s_endpgm
	.section	.rodata,"a",@progbits
	.p2align	6, 0x0
	.amdhsa_kernel fft_rtc_fwd_len3200_factors_10_10_4_4_2_wgs_160_tpt_160_halfLds_sp_ip_CI_unitstride_sbrr_dirReg
		.amdhsa_group_segment_fixed_size 0
		.amdhsa_private_segment_fixed_size 0
		.amdhsa_kernarg_size 88
		.amdhsa_user_sgpr_count 2
		.amdhsa_user_sgpr_dispatch_ptr 0
		.amdhsa_user_sgpr_queue_ptr 0
		.amdhsa_user_sgpr_kernarg_segment_ptr 1
		.amdhsa_user_sgpr_dispatch_id 0
		.amdhsa_user_sgpr_kernarg_preload_length 0
		.amdhsa_user_sgpr_kernarg_preload_offset 0
		.amdhsa_user_sgpr_private_segment_size 0
		.amdhsa_uses_dynamic_stack 0
		.amdhsa_enable_private_segment 0
		.amdhsa_system_sgpr_workgroup_id_x 1
		.amdhsa_system_sgpr_workgroup_id_y 0
		.amdhsa_system_sgpr_workgroup_id_z 0
		.amdhsa_system_sgpr_workgroup_info 0
		.amdhsa_system_vgpr_workitem_id 0
		.amdhsa_next_free_vgpr 103
		.amdhsa_next_free_sgpr 22
		.amdhsa_accum_offset 104
		.amdhsa_reserve_vcc 1
		.amdhsa_float_round_mode_32 0
		.amdhsa_float_round_mode_16_64 0
		.amdhsa_float_denorm_mode_32 3
		.amdhsa_float_denorm_mode_16_64 3
		.amdhsa_dx10_clamp 1
		.amdhsa_ieee_mode 1
		.amdhsa_fp16_overflow 0
		.amdhsa_tg_split 0
		.amdhsa_exception_fp_ieee_invalid_op 0
		.amdhsa_exception_fp_denorm_src 0
		.amdhsa_exception_fp_ieee_div_zero 0
		.amdhsa_exception_fp_ieee_overflow 0
		.amdhsa_exception_fp_ieee_underflow 0
		.amdhsa_exception_fp_ieee_inexact 0
		.amdhsa_exception_int_div_zero 0
	.end_amdhsa_kernel
	.text
.Lfunc_end0:
	.size	fft_rtc_fwd_len3200_factors_10_10_4_4_2_wgs_160_tpt_160_halfLds_sp_ip_CI_unitstride_sbrr_dirReg, .Lfunc_end0-fft_rtc_fwd_len3200_factors_10_10_4_4_2_wgs_160_tpt_160_halfLds_sp_ip_CI_unitstride_sbrr_dirReg
                                        ; -- End function
	.section	.AMDGPU.csdata,"",@progbits
; Kernel info:
; codeLenInByte = 11700
; NumSgprs: 28
; NumVgprs: 103
; NumAgprs: 0
; TotalNumVgprs: 103
; ScratchSize: 0
; MemoryBound: 0
; FloatMode: 240
; IeeeMode: 1
; LDSByteSize: 0 bytes/workgroup (compile time only)
; SGPRBlocks: 3
; VGPRBlocks: 12
; NumSGPRsForWavesPerEU: 28
; NumVGPRsForWavesPerEU: 103
; AccumOffset: 104
; Occupancy: 4
; WaveLimiterHint : 1
; COMPUTE_PGM_RSRC2:SCRATCH_EN: 0
; COMPUTE_PGM_RSRC2:USER_SGPR: 2
; COMPUTE_PGM_RSRC2:TRAP_HANDLER: 0
; COMPUTE_PGM_RSRC2:TGID_X_EN: 1
; COMPUTE_PGM_RSRC2:TGID_Y_EN: 0
; COMPUTE_PGM_RSRC2:TGID_Z_EN: 0
; COMPUTE_PGM_RSRC2:TIDIG_COMP_CNT: 0
; COMPUTE_PGM_RSRC3_GFX90A:ACCUM_OFFSET: 25
; COMPUTE_PGM_RSRC3_GFX90A:TG_SPLIT: 0
	.text
	.p2alignl 6, 3212836864
	.fill 256, 4, 3212836864
	.type	__hip_cuid_6a1c9cf8a3bc889e,@object ; @__hip_cuid_6a1c9cf8a3bc889e
	.section	.bss,"aw",@nobits
	.globl	__hip_cuid_6a1c9cf8a3bc889e
__hip_cuid_6a1c9cf8a3bc889e:
	.byte	0                               ; 0x0
	.size	__hip_cuid_6a1c9cf8a3bc889e, 1

	.ident	"AMD clang version 19.0.0git (https://github.com/RadeonOpenCompute/llvm-project roc-6.4.0 25133 c7fe45cf4b819c5991fe208aaa96edf142730f1d)"
	.section	".note.GNU-stack","",@progbits
	.addrsig
	.addrsig_sym __hip_cuid_6a1c9cf8a3bc889e
	.amdgpu_metadata
---
amdhsa.kernels:
  - .agpr_count:     0
    .args:
      - .actual_access:  read_only
        .address_space:  global
        .offset:         0
        .size:           8
        .value_kind:     global_buffer
      - .offset:         8
        .size:           8
        .value_kind:     by_value
      - .actual_access:  read_only
        .address_space:  global
        .offset:         16
        .size:           8
        .value_kind:     global_buffer
      - .actual_access:  read_only
        .address_space:  global
        .offset:         24
        .size:           8
        .value_kind:     global_buffer
      - .offset:         32
        .size:           8
        .value_kind:     by_value
      - .actual_access:  read_only
        .address_space:  global
        .offset:         40
        .size:           8
        .value_kind:     global_buffer
      - .actual_access:  read_only
        .address_space:  global
        .offset:         48
        .size:           8
        .value_kind:     global_buffer
      - .offset:         56
        .size:           4
        .value_kind:     by_value
      - .actual_access:  read_only
        .address_space:  global
        .offset:         64
        .size:           8
        .value_kind:     global_buffer
      - .actual_access:  read_only
        .address_space:  global
        .offset:         72
        .size:           8
        .value_kind:     global_buffer
      - .address_space:  global
        .offset:         80
        .size:           8
        .value_kind:     global_buffer
    .group_segment_fixed_size: 0
    .kernarg_segment_align: 8
    .kernarg_segment_size: 88
    .language:       OpenCL C
    .language_version:
      - 2
      - 0
    .max_flat_workgroup_size: 160
    .name:           fft_rtc_fwd_len3200_factors_10_10_4_4_2_wgs_160_tpt_160_halfLds_sp_ip_CI_unitstride_sbrr_dirReg
    .private_segment_fixed_size: 0
    .sgpr_count:     28
    .sgpr_spill_count: 0
    .symbol:         fft_rtc_fwd_len3200_factors_10_10_4_4_2_wgs_160_tpt_160_halfLds_sp_ip_CI_unitstride_sbrr_dirReg.kd
    .uniform_work_group_size: 1
    .uses_dynamic_stack: false
    .vgpr_count:     103
    .vgpr_spill_count: 0
    .wavefront_size: 64
amdhsa.target:   amdgcn-amd-amdhsa--gfx950
amdhsa.version:
  - 1
  - 2
...

	.end_amdgpu_metadata
